;; amdgpu-corpus repo=ROCm/rocFFT kind=compiled arch=gfx906 opt=O3
	.text
	.amdgcn_target "amdgcn-amd-amdhsa--gfx906"
	.amdhsa_code_object_version 6
	.protected	bluestein_single_back_len480_dim1_half_op_CI_CI ; -- Begin function bluestein_single_back_len480_dim1_half_op_CI_CI
	.globl	bluestein_single_back_len480_dim1_half_op_CI_CI
	.p2align	8
	.type	bluestein_single_back_len480_dim1_half_op_CI_CI,@function
bluestein_single_back_len480_dim1_half_op_CI_CI: ; @bluestein_single_back_len480_dim1_half_op_CI_CI
; %bb.0:
	s_load_dwordx4 s[16:19], s[4:5], 0x28
	v_lshrrev_b32_e32 v2, 4, v0
	v_mov_b32_e32 v1, 0
	v_lshl_or_b32 v48, s6, 2, v2
	v_mov_b32_e32 v49, v1
	s_waitcnt lgkmcnt(0)
	v_cmp_gt_u64_e32 vcc, s[16:17], v[48:49]
	s_and_saveexec_b64 s[0:1], vcc
	s_cbranch_execz .LBB0_10
; %bb.1:
	s_load_dwordx4 s[12:15], s[4:5], 0x18
	s_load_dwordx4 s[8:11], s[4:5], 0x0
	v_and_b32_e32 v110, 15, v0
	v_lshlrev_b32_e32 v63, 2, v110
	v_mul_u32_u24_e32 v114, 0x1e0, v2
	s_waitcnt lgkmcnt(0)
	s_load_dwordx4 s[0:3], s[12:13], 0x0
	global_load_dword v112, v63, s[8:9]
	v_or_b32_e32 v2, v114, v110
	v_lshlrev_b32_e32 v113, 2, v2
	v_lshl_or_b32 v92, v114, 2, v63
	s_waitcnt lgkmcnt(0)
	v_mad_u64_u32 v[3:4], s[6:7], s2, v48, 0
	v_mad_u64_u32 v[5:6], s[6:7], s0, v110, 0
	v_mov_b32_e32 v0, v4
	s_mul_hi_u32 s12, s0, 0xc0
	v_mov_b32_e32 v4, v6
	v_mad_u64_u32 v[6:7], s[2:3], s3, v48, v[0:1]
	v_mad_u64_u32 v[7:8], s[2:3], s1, v110, v[4:5]
	v_mov_b32_e32 v4, v6
	v_lshlrev_b64 v[3:4], 2, v[3:4]
	v_mov_b32_e32 v6, v7
	v_mov_b32_e32 v0, s19
	v_lshlrev_b64 v[5:6], 2, v[5:6]
	v_add_co_u32_e32 v3, vcc, s18, v3
	v_addc_co_u32_e32 v0, vcc, v0, v4, vcc
	v_add_co_u32_e32 v3, vcc, v3, v5
	v_addc_co_u32_e32 v4, vcc, v0, v6, vcc
	global_load_dword v5, v[3:4], off
	s_mul_i32 s2, s1, 0xc0
	s_add_i32 s12, s12, s2
	s_mul_i32 s13, s0, 0xc0
	v_mov_b32_e32 v0, s12
	v_add_co_u32_e32 v3, vcc, s13, v3
	v_addc_co_u32_e32 v4, vcc, v4, v0, vcc
	global_load_dword v6, v[3:4], off
	global_load_dword v111, v63, s[8:9] offset:192
	v_add_co_u32_e32 v3, vcc, s13, v3
	v_addc_co_u32_e32 v4, vcc, v4, v0, vcc
	global_load_dword v7, v[3:4], off
	global_load_dword v108, v63, s[8:9] offset:384
	;; [unrolled: 4-line block ×4, first 2 shown]
	v_mov_b32_e32 v2, s12
	v_add_co_u32_e32 v3, vcc, s13, v3
	v_addc_co_u32_e32 v4, vcc, v4, v2, vcc
	global_load_dword v10, v[3:4], off
	global_load_dword v103, v63, s[8:9] offset:960
	v_mov_b32_e32 v11, s12
	v_add_co_u32_e32 v3, vcc, s13, v3
	v_addc_co_u32_e32 v4, vcc, v4, v11, vcc
	s_load_dwordx2 s[2:3], s[4:5], 0x38
	s_mulk_i32 s1, 0xf980
	s_load_dwordx4 s[4:7], s[14:15], 0x0
	global_load_dword v101, v63, s[8:9] offset:64
	global_load_dword v100, v63, s[8:9] offset:256
	;; [unrolled: 1-line block ×7, first 2 shown]
	global_load_dword v11, v[3:4], off
	v_add_co_u32_e32 v3, vcc, s13, v3
	v_mov_b32_e32 v18, s12
	v_mov_b32_e32 v19, s12
	v_add_u32_e32 v29, 0x200, v92
	v_mov_b32_e32 v26, s12
	v_mov_b32_e32 v27, s12
	;; [unrolled: 1-line block ×3, first 2 shown]
	v_or_b32_e32 v0, 48, v110
	v_mov_b32_e32 v2, s9
                                        ; implicit-def: $vgpr74
	s_waitcnt vmcnt(18)
	v_lshrrev_b32_e32 v12, 16, v5
	v_mul_f16_sdwa v13, v112, v5 dst_sel:DWORD dst_unused:UNUSED_PAD src0_sel:WORD_1 src1_sel:DWORD
	v_mul_f16_sdwa v14, v112, v12 dst_sel:DWORD dst_unused:UNUSED_PAD src0_sel:WORD_1 src1_sel:DWORD
	v_fma_f16 v12, v112, v12, -v13
	v_fma_f16 v5, v112, v5, v14
	v_pack_b32_f16 v5, v5, v12
	ds_write_b32 v113, v5
	global_load_dword v85, v63, s[8:9] offset:896
	global_load_dword v87, v63, s[8:9] offset:704
	;; [unrolled: 1-line block ×3, first 2 shown]
	s_waitcnt vmcnt(20)
	v_lshrrev_b32_e32 v13, 16, v6
	s_waitcnt vmcnt(19)
	v_mul_f16_sdwa v15, v111, v6 dst_sel:DWORD dst_unused:UNUSED_PAD src0_sel:WORD_1 src1_sel:DWORD
	v_mul_f16_sdwa v14, v111, v13 dst_sel:DWORD dst_unused:UNUSED_PAD src0_sel:WORD_1 src1_sel:DWORD
	global_load_dword v109, v63, s[8:9] offset:1152
	v_fma_f16 v13, v111, v13, -v15
	v_fma_f16 v6, v111, v6, v14
	v_pack_b32_f16 v13, v6, v13
	v_mov_b32_e32 v6, s12
	v_addc_co_u32_e32 v4, vcc, v4, v6, vcc
	global_load_dword v6, v[3:4], off
	global_load_dword v106, v63, s[8:9] offset:1344
	s_waitcnt vmcnt(21)
	v_lshrrev_b32_e32 v15, 16, v7
	s_waitcnt vmcnt(20)
	v_mul_f16_sdwa v16, v108, v7 dst_sel:DWORD dst_unused:UNUSED_PAD src0_sel:WORD_1 src1_sel:DWORD
	v_mul_f16_sdwa v12, v108, v15 dst_sel:DWORD dst_unused:UNUSED_PAD src0_sel:WORD_1 src1_sel:DWORD
	v_fma_f16 v14, v108, v15, -v16
	v_fma_f16 v5, v108, v7, v12
	v_pack_b32_f16 v7, v5, v14
	v_mov_b32_e32 v14, s12
	v_add_co_u32_e32 v3, vcc, s13, v3
	v_addc_co_u32_e32 v4, vcc, v4, v14, vcc
	s_waitcnt vmcnt(19)
	v_lshrrev_b32_e32 v15, 16, v8
	global_load_dword v14, v[3:4], off
	s_waitcnt vmcnt(19)
	v_mul_f16_sdwa v5, v107, v15 dst_sel:DWORD dst_unused:UNUSED_PAD src0_sel:WORD_1 src1_sel:DWORD
	global_load_dword v104, v63, s[8:9] offset:1536
	v_fma_f16 v5, v107, v8, v5
	v_mul_f16_sdwa v8, v107, v8 dst_sel:DWORD dst_unused:UNUSED_PAD src0_sel:WORD_1 src1_sel:DWORD
	v_fma_f16 v8, v107, v15, -v8
	v_mov_b32_e32 v15, s12
	v_add_co_u32_e32 v3, vcc, s13, v3
	v_addc_co_u32_e32 v4, vcc, v4, v15, vcc
	global_load_dword v15, v[3:4], off
	global_load_dword v102, v63, s[8:9] offset:1728
	v_mov_b32_e32 v16, 0xfffff980
	v_mad_u64_u32 v[3:4], s[14:15], s0, v16, v[3:4]
	s_sub_i32 s14, s1, s0
	v_pack_b32_f16 v8, v5, v8
	s_waitcnt vmcnt(21)
	v_lshrrev_b32_e32 v5, 16, v9
	v_add_u32_e32 v4, s14, v4
	s_waitcnt vmcnt(20)
	v_mul_f16_sdwa v12, v105, v5 dst_sel:DWORD dst_unused:UNUSED_PAD src0_sel:WORD_1 src1_sel:DWORD
	global_load_dword v17, v[3:4], off
	v_fma_f16 v12, v105, v9, v12
	v_mul_f16_sdwa v9, v105, v9 dst_sel:DWORD dst_unused:UNUSED_PAD src0_sel:WORD_1 src1_sel:DWORD
	v_add_co_u32_e32 v3, vcc, s13, v3
	v_fma_f16 v5, v105, v5, -v9
	v_addc_co_u32_e32 v4, vcc, v4, v18, vcc
	v_pack_b32_f16 v9, v12, v5
	s_waitcnt vmcnt(20)
	v_lshrrev_b32_e32 v5, 16, v10
	global_load_dword v18, v[3:4], off
	s_waitcnt vmcnt(20)
	v_mul_f16_sdwa v12, v103, v5 dst_sel:DWORD dst_unused:UNUSED_PAD src0_sel:WORD_1 src1_sel:DWORD
	v_fma_f16 v12, v103, v10, v12
	v_mul_f16_sdwa v10, v103, v10 dst_sel:DWORD dst_unused:UNUSED_PAD src0_sel:WORD_1 src1_sel:DWORD
	v_fma_f16 v5, v103, v5, -v10
	v_mov_b32_e32 v10, s12
	v_add_co_u32_e32 v3, vcc, s13, v3
	v_addc_co_u32_e32 v4, vcc, v4, v10, vcc
	global_load_dword v10, v[3:4], off
	v_add_co_u32_e32 v3, vcc, s13, v3
	v_addc_co_u32_e32 v4, vcc, v4, v19, vcc
	global_load_dword v19, v[3:4], off
	v_pack_b32_f16 v12, v12, v5
	v_mov_b32_e32 v5, s12
	v_add_co_u32_e32 v3, vcc, s13, v3
	v_addc_co_u32_e32 v4, vcc, v4, v5, vcc
	global_load_dword v20, v[3:4], off
	v_add_co_u32_e32 v3, vcc, s13, v3
	v_addc_co_u32_e32 v4, vcc, v4, v5, vcc
	global_load_dword v21, v[3:4], off
	global_load_dword v99, v63, s[8:9] offset:1024
	s_waitcnt vmcnt(17)
	v_lshrrev_b32_e32 v5, 16, v11
	global_load_dword v96, v63, s[8:9] offset:1216
	global_load_dword v94, v63, s[8:9] offset:1408
	global_load_dword v83, v63, s[8:9] offset:1472
	global_load_dword v84, v63, s[8:9] offset:1280
	global_load_dword v86, v63, s[8:9] offset:1088
	s_waitcnt vmcnt(18)
	v_mul_f16_sdwa v22, v109, v5 dst_sel:DWORD dst_unused:UNUSED_PAD src0_sel:WORD_1 src1_sel:DWORD
	v_fma_f16 v22, v109, v11, v22
	v_mul_f16_sdwa v11, v109, v11 dst_sel:DWORD dst_unused:UNUSED_PAD src0_sel:WORD_1 src1_sel:DWORD
	v_fma_f16 v5, v109, v5, -v11
	v_pack_b32_f16 v11, v22, v5
	s_movk_i32 s15, 0x3a79
	s_waitcnt vmcnt(17)
	v_lshrrev_b32_e32 v22, 16, v6
	s_waitcnt vmcnt(16)
	v_mul_f16_sdwa v5, v106, v22 dst_sel:DWORD dst_unused:UNUSED_PAD src0_sel:WORD_1 src1_sel:DWORD
	v_fma_f16 v23, v106, v6, v5
	v_mul_f16_sdwa v24, v106, v6 dst_sel:DWORD dst_unused:UNUSED_PAD src0_sel:WORD_1 src1_sel:DWORD
	v_mov_b32_e32 v6, s12
	v_add_co_u32_e32 v5, vcc, s13, v3
	v_addc_co_u32_e32 v6, vcc, v4, v6, vcc
	global_load_dword v25, v[5:6], off
	v_fma_f16 v3, v106, v22, -v24
	v_pack_b32_f16 v22, v23, v3
	v_mov_b32_e32 v24, s12
	global_load_dword v93, v63, s[8:9] offset:1600
	global_load_dword v91, v63, s[8:9] offset:1792
	;; [unrolled: 1-line block ×4, first 2 shown]
	s_waitcnt vmcnt(20)
	v_lshrrev_b32_e32 v3, 16, v14
	s_waitcnt vmcnt(19)
	v_mul_f16_sdwa v4, v104, v3 dst_sel:DWORD dst_unused:UNUSED_PAD src0_sel:WORD_1 src1_sel:DWORD
	v_fma_f16 v4, v104, v14, v4
	v_mul_f16_sdwa v14, v104, v14 dst_sel:DWORD dst_unused:UNUSED_PAD src0_sel:WORD_1 src1_sel:DWORD
	v_fma_f16 v3, v104, v3, -v14
	v_pack_b32_f16 v14, v4, v3
	s_waitcnt vmcnt(18)
	v_lshrrev_b32_e32 v3, 16, v15
	s_waitcnt vmcnt(17)
	v_mul_f16_sdwa v4, v102, v3 dst_sel:DWORD dst_unused:UNUSED_PAD src0_sel:WORD_1 src1_sel:DWORD
	v_fma_f16 v4, v102, v15, v4
	v_mul_f16_sdwa v15, v102, v15 dst_sel:DWORD dst_unused:UNUSED_PAD src0_sel:WORD_1 src1_sel:DWORD
	v_fma_f16 v3, v102, v3, -v15
	v_pack_b32_f16 v15, v4, v3
	v_add_co_u32_e32 v4, vcc, s13, v5
	v_addc_co_u32_e32 v5, vcc, v6, v24, vcc
	global_load_dword v6, v[4:5], off
	s_waitcnt vmcnt(17)
	v_lshrrev_b32_e32 v23, 16, v17
	v_mul_f16_sdwa v24, v101, v23 dst_sel:DWORD dst_unused:UNUSED_PAD src0_sel:WORD_1 src1_sel:DWORD
	v_fma_f16 v24, v101, v17, v24
	v_mul_f16_sdwa v17, v101, v17 dst_sel:DWORD dst_unused:UNUSED_PAD src0_sel:WORD_1 src1_sel:DWORD
	v_fma_f16 v17, v101, v23, -v17
	v_pack_b32_f16 v17, v24, v17
	v_add_co_u32_e32 v4, vcc, s13, v4
	v_or_b32_e32 v3, 16, v110
	s_waitcnt vmcnt(16)
	v_lshrrev_b32_e32 v23, 16, v18
	v_mul_f16_sdwa v24, v100, v23 dst_sel:DWORD dst_unused:UNUSED_PAD src0_sel:WORD_1 src1_sel:DWORD
	v_fma_f16 v24, v100, v18, v24
	v_mul_f16_sdwa v18, v100, v18 dst_sel:DWORD dst_unused:UNUSED_PAD src0_sel:WORD_1 src1_sel:DWORD
	v_fma_f16 v18, v100, v23, -v18
	v_pack_b32_f16 v18, v24, v18
	ds_write2_b32 v92, v13, v18 offset0:48 offset1:64
	v_mov_b32_e32 v24, s12
	s_waitcnt vmcnt(15)
	v_lshrrev_b32_e32 v13, 16, v10
	v_mul_f16_sdwa v18, v98, v13 dst_sel:DWORD dst_unused:UNUSED_PAD src0_sel:WORD_1 src1_sel:DWORD
	v_fma_f16 v18, v98, v10, v18
	v_mul_f16_sdwa v10, v98, v10 dst_sel:DWORD dst_unused:UNUSED_PAD src0_sel:WORD_1 src1_sel:DWORD
	v_fma_f16 v10, v98, v13, -v10
	s_waitcnt vmcnt(14)
	v_lshrrev_b32_e32 v13, 16, v19
	v_pack_b32_f16 v10, v18, v10
	v_mul_f16_sdwa v18, v97, v13 dst_sel:DWORD dst_unused:UNUSED_PAD src0_sel:WORD_1 src1_sel:DWORD
	v_fma_f16 v18, v97, v19, v18
	v_mul_f16_sdwa v19, v97, v19 dst_sel:DWORD dst_unused:UNUSED_PAD src0_sel:WORD_1 src1_sel:DWORD
	v_fma_f16 v13, v97, v13, -v19
	v_pack_b32_f16 v13, v18, v13
	ds_write2_b32 v92, v8, v13 offset0:144 offset1:160
	s_waitcnt vmcnt(13)
	v_lshrrev_b32_e32 v8, 16, v20
	v_mul_f16_sdwa v13, v95, v8 dst_sel:DWORD dst_unused:UNUSED_PAD src0_sel:WORD_1 src1_sel:DWORD
	v_mul_f16_sdwa v18, v95, v20 dst_sel:DWORD dst_unused:UNUSED_PAD src0_sel:WORD_1 src1_sel:DWORD
	v_fma_f16 v13, v95, v20, v13
	v_fma_f16 v8, v95, v8, -v18
	v_pack_b32_f16 v8, v13, v8
	s_waitcnt vmcnt(12)
	v_lshrrev_b32_e32 v13, 16, v21
	s_waitcnt vmcnt(11)
	v_mul_f16_sdwa v18, v99, v13 dst_sel:DWORD dst_unused:UNUSED_PAD src0_sel:WORD_1 src1_sel:DWORD
	v_mul_f16_sdwa v19, v99, v21 dst_sel:DWORD dst_unused:UNUSED_PAD src0_sel:WORD_1 src1_sel:DWORD
	v_fma_f16 v18, v99, v21, v18
	v_fma_f16 v13, v99, v13, -v19
	v_pack_b32_f16 v13, v18, v13
	v_mov_b32_e32 v18, s12
	v_addc_co_u32_e32 v5, vcc, v5, v18, vcc
	global_load_dword v18, v[4:5], off
	v_mov_b32_e32 v19, s12
	v_add_co_u32_e32 v4, vcc, s13, v4
	v_addc_co_u32_e32 v5, vcc, v5, v19, vcc
	global_load_dword v19, v[4:5], off
	v_mad_u64_u32 v[4:5], s[0:1], s0, v16, v[4:5]
	v_mov_b32_e32 v21, s12
	ds_write2_b32 v29, v12, v13 offset0:112 offset1:128
	v_add_u32_e32 v5, s14, v5
	global_load_dword v16, v[4:5], off
	v_add_co_u32_e32 v4, vcc, s13, v4
	v_addc_co_u32_e32 v5, vcc, v5, v21, vcc
	global_load_dword v21, v[4:5], off
	s_waitcnt vmcnt(9)
	v_lshrrev_b32_e32 v12, 16, v25
	v_mul_f16_sdwa v20, v96, v25 dst_sel:DWORD dst_unused:UNUSED_PAD src0_sel:WORD_1 src1_sel:DWORD
	v_mul_f16_sdwa v13, v96, v12 dst_sel:DWORD dst_unused:UNUSED_PAD src0_sel:WORD_1 src1_sel:DWORD
	v_fma_f16 v12, v96, v12, -v20
	v_mov_b32_e32 v20, s12
	v_add_co_u32_e32 v4, vcc, s13, v4
	v_addc_co_u32_e32 v5, vcc, v5, v20, vcc
	global_load_dword v20, v[4:5], off
	v_fma_f16 v13, v96, v25, v13
	v_pack_b32_f16 v13, v13, v12
	v_mov_b32_e32 v12, s12
	v_add_co_u32_e32 v4, vcc, s13, v4
	v_addc_co_u32_e32 v5, vcc, v5, v12, vcc
	global_load_dword v23, v[4:5], off
	v_add_co_u32_e32 v4, vcc, s13, v4
	v_addc_co_u32_e32 v5, vcc, v5, v24, vcc
	global_load_dword v24, v[4:5], off
	v_add_co_u32_e32 v4, vcc, s13, v4
	v_addc_co_u32_e32 v5, vcc, v5, v26, vcc
	global_load_dword v26, v[4:5], off
	v_add_co_u32_e32 v4, vcc, s13, v4
	v_addc_co_u32_e32 v5, vcc, v5, v27, vcc
	global_load_dword v27, v[4:5], off
	v_add_co_u32_e32 v4, vcc, s13, v4
	s_waitcnt vmcnt(9)
	v_lshrrev_b32_e32 v12, 16, v6
	v_addc_co_u32_e32 v5, vcc, v5, v28, vcc
	v_mul_f16_sdwa v25, v94, v12 dst_sel:DWORD dst_unused:UNUSED_PAD src0_sel:WORD_1 src1_sel:DWORD
	global_load_dword v28, v[4:5], off
	v_fma_f16 v25, v94, v6, v25
	v_mul_f16_sdwa v6, v94, v6 dst_sel:DWORD dst_unused:UNUSED_PAD src0_sel:WORD_1 src1_sel:DWORD
	v_fma_f16 v6, v94, v12, -v6
	v_mov_b32_e32 v12, s12
	v_add_co_u32_e32 v4, vcc, s13, v4
	v_addc_co_u32_e32 v5, vcc, v5, v12, vcc
	global_load_dword v30, v[4:5], off
	v_add_co_u32_e32 v4, vcc, s13, v4
	v_addc_co_u32_e32 v5, vcc, v5, v12, vcc
	global_load_dword v5, v[4:5], off
	v_pack_b32_f16 v6, v25, v6
	v_add_u32_e32 v4, 0x400, v92
	ds_write2_b32 v4, v22, v6 offset0:80 offset1:96
	s_movk_i32 s13, 0x3b9c
	s_mov_b32 s1, 0xbb9c
	s_movk_i32 s14, 0x38b4
	s_mov_b32 s0, 0xb8b4
	s_movk_i32 s12, 0x34f2
	s_waitcnt vmcnt(11)
	v_lshrrev_b32_e32 v6, 16, v18
	v_mul_f16_sdwa v12, v93, v6 dst_sel:DWORD dst_unused:UNUSED_PAD src0_sel:WORD_1 src1_sel:DWORD
	v_fma_f16 v12, v93, v18, v12
	v_mul_f16_sdwa v18, v93, v18 dst_sel:DWORD dst_unused:UNUSED_PAD src0_sel:WORD_1 src1_sel:DWORD
	v_fma_f16 v6, v93, v6, -v18
	v_pack_b32_f16 v6, v12, v6
	s_waitcnt vmcnt(10)
	v_lshrrev_b32_e32 v12, 16, v19
	v_mul_f16_sdwa v18, v91, v12 dst_sel:DWORD dst_unused:UNUSED_PAD src0_sel:WORD_1 src1_sel:DWORD
	v_fma_f16 v18, v91, v19, v18
	v_mul_f16_sdwa v19, v91, v19 dst_sel:DWORD dst_unused:UNUSED_PAD src0_sel:WORD_1 src1_sel:DWORD
	v_fma_f16 v12, v91, v12, -v19
	v_pack_b32_f16 v12, v18, v12
	ds_write2_b32 v4, v15, v12 offset0:176 offset1:192
	s_waitcnt vmcnt(9)
	v_lshrrev_b32_e32 v15, 16, v16
	v_mul_f16_sdwa v18, v90, v15 dst_sel:DWORD dst_unused:UNUSED_PAD src0_sel:WORD_1 src1_sel:DWORD
	v_fma_f16 v18, v90, v16, v18
	v_mul_f16_sdwa v16, v90, v16 dst_sel:DWORD dst_unused:UNUSED_PAD src0_sel:WORD_1 src1_sel:DWORD
	v_fma_f16 v15, v90, v15, -v16
	v_pack_b32_f16 v15, v18, v15
	ds_write2_b32 v92, v17, v15 offset0:16 offset1:32
	s_waitcnt vmcnt(8)
	v_lshrrev_b32_e32 v15, 16, v21
	v_mul_f16_sdwa v16, v89, v15 dst_sel:DWORD dst_unused:UNUSED_PAD src0_sel:WORD_1 src1_sel:DWORD
	v_mul_f16_sdwa v17, v89, v21 dst_sel:DWORD dst_unused:UNUSED_PAD src0_sel:WORD_1 src1_sel:DWORD
	v_fma_f16 v16, v89, v21, v16
	v_fma_f16 v15, v89, v15, -v17
	v_pack_b32_f16 v15, v16, v15
	ds_write2_b32 v92, v15, v7 offset0:80 offset1:96
	s_waitcnt vmcnt(7)
	v_lshrrev_b32_e32 v7, 16, v20
	v_mul_f16_sdwa v15, v88, v7 dst_sel:DWORD dst_unused:UNUSED_PAD src0_sel:WORD_1 src1_sel:DWORD
	v_mul_f16_sdwa v16, v88, v20 dst_sel:DWORD dst_unused:UNUSED_PAD src0_sel:WORD_1 src1_sel:DWORD
	v_fma_f16 v15, v88, v20, v15
	v_fma_f16 v7, v88, v7, -v16
	v_pack_b32_f16 v7, v15, v7
	ds_write2_b32 v92, v10, v7 offset0:112 offset1:128
	v_or_b32_e32 v12, 32, v110
	s_waitcnt vmcnt(6)
	v_lshrrev_b32_e32 v7, 16, v23
	v_mul_f16_sdwa v10, v87, v7 dst_sel:DWORD dst_unused:UNUSED_PAD src0_sel:WORD_1 src1_sel:DWORD
	v_mul_f16_sdwa v15, v87, v23 dst_sel:DWORD dst_unused:UNUSED_PAD src0_sel:WORD_1 src1_sel:DWORD
	v_fma_f16 v10, v87, v23, v10
	v_fma_f16 v7, v87, v7, -v15
	v_pack_b32_f16 v7, v10, v7
	ds_write2_b32 v92, v7, v9 offset0:176 offset1:192
	s_waitcnt vmcnt(5)
	v_lshrrev_b32_e32 v7, 16, v24
	v_mul_f16_sdwa v9, v85, v7 dst_sel:DWORD dst_unused:UNUSED_PAD src0_sel:WORD_1 src1_sel:DWORD
	v_mul_f16_sdwa v10, v85, v24 dst_sel:DWORD dst_unused:UNUSED_PAD src0_sel:WORD_1 src1_sel:DWORD
	v_fma_f16 v9, v85, v24, v9
	v_fma_f16 v7, v85, v7, -v10
	v_pack_b32_f16 v7, v9, v7
	ds_write2_b32 v92, v8, v7 offset0:208 offset1:224
	;; [unrolled: 8-line block ×6, first 2 shown]
	s_waitcnt vmcnt(0)
	v_lshrrev_b32_e32 v6, 16, v5
	v_mul_f16_sdwa v7, v81, v6 dst_sel:DWORD dst_unused:UNUSED_PAD src0_sel:WORD_1 src1_sel:DWORD
	v_fma_f16 v7, v81, v5, v7
	v_mul_f16_sdwa v5, v81, v5 dst_sel:DWORD dst_unused:UNUSED_PAD src0_sel:WORD_1 src1_sel:DWORD
	v_fma_f16 v5, v81, v6, -v5
	v_pack_b32_f16 v5, v7, v5
	ds_write_b32 v92, v5 offset:1856
	s_waitcnt lgkmcnt(0)
	; wave barrier
	s_waitcnt lgkmcnt(0)
	ds_read2_b32 v[6:7], v92 offset0:16 offset1:32
	ds_read2_b32 v[8:9], v92 offset0:80 offset1:96
	;; [unrolled: 1-line block ×9, first 2 shown]
	s_waitcnt lgkmcnt(4)
	v_add_f16_e32 v5, v14, v16
	v_fma_f16 v5, v5, -0.5, v7
	s_waitcnt lgkmcnt(2)
	v_sub_f16_sdwa v19, v11, v18 dst_sel:DWORD dst_unused:UNUSED_PAD src0_sel:WORD_1 src1_sel:WORD_1
	v_fma_f16 v20, v19, s13, v5
	v_sub_f16_sdwa v27, v14, v16 dst_sel:DWORD dst_unused:UNUSED_PAD src0_sel:WORD_1 src1_sel:WORD_1
	v_sub_f16_e32 v28, v18, v16
	v_sub_f16_e32 v30, v11, v14
	v_fma_f16 v5, v19, s1, v5
	v_fma_f16 v20, v27, s14, v20
	v_add_f16_e32 v28, v30, v28
	v_fma_f16 v5, v27, s0, v5
	v_fma_f16 v20, v28, s12, v20
	;; [unrolled: 1-line block ×3, first 2 shown]
	v_add_f16_e32 v5, v11, v18
	v_fma_f16 v5, v5, -0.5, v7
	v_fma_f16 v30, v27, s1, v5
	v_sub_f16_e32 v31, v16, v18
	v_sub_f16_e32 v32, v14, v11
	v_fma_f16 v5, v27, s13, v5
	v_add_f16_e32 v31, v32, v31
	v_fma_f16 v5, v19, s0, v5
	v_fma_f16 v30, v19, s14, v30
	;; [unrolled: 1-line block ×3, first 2 shown]
	v_pk_add_f16 v5, v7, v11
	v_add_f16_sdwa v19, v14, v16 dst_sel:DWORD dst_unused:UNUSED_PAD src0_sel:WORD_1 src1_sel:WORD_1
	v_lshrrev_b32_e32 v7, 16, v7
	v_fma_f16 v30, v31, s12, v30
	v_fma_f16 v19, v19, -0.5, v7
	v_sub_f16_e32 v31, v11, v18
	v_fma_f16 v32, v31, s1, v19
	v_sub_f16_e32 v33, v14, v16
	v_sub_f16_sdwa v34, v11, v14 dst_sel:DWORD dst_unused:UNUSED_PAD src0_sel:WORD_1 src1_sel:WORD_1
	v_sub_f16_sdwa v35, v18, v16 dst_sel:DWORD dst_unused:UNUSED_PAD src0_sel:WORD_1 src1_sel:WORD_1
	v_fma_f16 v19, v31, s13, v19
	v_pk_add_f16 v5, v5, v14
	v_fma_f16 v32, v33, s0, v32
	v_add_f16_e32 v34, v34, v35
	v_fma_f16 v19, v33, s14, v19
	v_pk_add_f16 v5, v5, v16
	v_fma_f16 v32, v34, s12, v32
	v_fma_f16 v34, v34, s12, v19
	v_add_f16_sdwa v19, v11, v18 dst_sel:DWORD dst_unused:UNUSED_PAD src0_sel:WORD_1 src1_sel:WORD_1
	v_sub_f16_sdwa v11, v14, v11 dst_sel:DWORD dst_unused:UNUSED_PAD src0_sel:WORD_1 src1_sel:WORD_1
	v_sub_f16_sdwa v14, v16, v18 dst_sel:DWORD dst_unused:UNUSED_PAD src0_sel:WORD_1 src1_sel:WORD_1
	ds_read_b32 v16, v92 offset:1856
	ds_read_b32 v35, v113
	v_fma_f16 v7, v19, -0.5, v7
	v_fma_f16 v19, v33, s13, v7
	v_fma_f16 v7, v33, s1, v7
	;; [unrolled: 1-line block ×3, first 2 shown]
	v_add_f16_e32 v11, v11, v14
	v_fma_f16 v7, v31, s14, v7
	v_fma_f16 v14, v11, s12, v19
	;; [unrolled: 1-line block ×3, first 2 shown]
	s_waitcnt lgkmcnt(2)
	v_add_f16_e32 v11, v23, v25
	v_pk_add_f16 v5, v5, v18
	v_fma_f16 v11, v11, -0.5, v8
	s_waitcnt lgkmcnt(1)
	v_sub_f16_sdwa v18, v21, v16 dst_sel:DWORD dst_unused:UNUSED_PAD src0_sel:WORD_1 src1_sel:WORD_1
	v_fma_f16 v19, v18, s13, v11
	v_sub_f16_sdwa v31, v23, v25 dst_sel:DWORD dst_unused:UNUSED_PAD src0_sel:WORD_1 src1_sel:WORD_1
	v_sub_f16_e32 v33, v16, v25
	v_sub_f16_e32 v36, v21, v23
	v_fma_f16 v11, v18, s1, v11
	v_fma_f16 v19, v31, s14, v19
	v_add_f16_e32 v33, v36, v33
	v_fma_f16 v11, v31, s0, v11
	v_fma_f16 v19, v33, s12, v19
	;; [unrolled: 1-line block ×3, first 2 shown]
	v_add_f16_e32 v33, v21, v16
	v_fma_f16 v33, v33, -0.5, v8
	v_fma_f16 v36, v31, s1, v33
	v_fma_f16 v31, v31, s13, v33
	v_fma_f16 v36, v18, s14, v36
	v_fma_f16 v18, v18, s0, v31
	v_pk_add_f16 v31, v8, v21
	v_sub_f16_e32 v37, v25, v16
	v_sub_f16_e32 v38, v23, v21
	v_pk_add_f16 v31, v31, v23
	v_add_f16_e32 v37, v38, v37
	v_pk_add_f16 v31, v31, v25
	v_fma_f16 v36, v37, s12, v36
	v_fma_f16 v18, v37, s12, v18
	v_pk_add_f16 v37, v31, v16
	v_add_f16_sdwa v31, v23, v25 dst_sel:DWORD dst_unused:UNUSED_PAD src0_sel:WORD_1 src1_sel:WORD_1
	v_lshrrev_b32_e32 v8, 16, v8
	v_fma_f16 v31, v31, -0.5, v8
	v_sub_f16_e32 v33, v21, v16
	v_fma_f16 v38, v33, s1, v31
	v_sub_f16_e32 v39, v23, v25
	v_sub_f16_sdwa v40, v21, v23 dst_sel:DWORD dst_unused:UNUSED_PAD src0_sel:WORD_1 src1_sel:WORD_1
	v_sub_f16_sdwa v41, v16, v25 dst_sel:DWORD dst_unused:UNUSED_PAD src0_sel:WORD_1 src1_sel:WORD_1
	v_fma_f16 v31, v33, s13, v31
	v_fma_f16 v38, v39, s0, v38
	v_add_f16_e32 v40, v40, v41
	v_fma_f16 v31, v39, s14, v31
	v_fma_f16 v38, v40, s12, v38
	;; [unrolled: 1-line block ×3, first 2 shown]
	v_add_f16_sdwa v40, v21, v16 dst_sel:DWORD dst_unused:UNUSED_PAD src0_sel:WORD_1 src1_sel:WORD_1
	v_fma_f16 v8, v40, -0.5, v8
	v_fma_f16 v40, v39, s13, v8
	v_sub_f16_sdwa v21, v23, v21 dst_sel:DWORD dst_unused:UNUSED_PAD src0_sel:WORD_1 src1_sel:WORD_1
	v_sub_f16_sdwa v16, v25, v16 dst_sel:DWORD dst_unused:UNUSED_PAD src0_sel:WORD_1 src1_sel:WORD_1
	v_fma_f16 v8, v39, s1, v8
	v_fma_f16 v40, v33, s0, v40
	v_add_f16_e32 v16, v21, v16
	v_fma_f16 v8, v33, s14, v8
	v_fma_f16 v21, v16, s12, v40
	;; [unrolled: 1-line block ×3, first 2 shown]
	v_mul_f16_e32 v16, 0x3a79, v19
	v_fma_f16 v23, v38, s14, v16
	v_mul_f16_e32 v16, 0x3b9c, v21
	v_fma_f16 v33, v36, s12, v16
	v_mul_f16_e32 v16, 0x34f2, v18
	v_fma_f16 v40, v8, s13, -v16
	v_mul_f16_e32 v8, 0x34f2, v8
	v_mul_f16_e32 v19, 0xb8b4, v19
	v_fma_f16 v8, v18, s1, -v8
	v_mul_f16_e32 v18, 0x3a79, v31
	v_mul_f16_e32 v16, 0x3a79, v11
	v_fma_f16 v38, v38, s15, v19
	v_mul_f16_e32 v19, 0xbb9c, v36
	v_fma_f16 v11, v11, s0, -v18
	v_fma_f16 v36, v21, s12, v19
	v_add_f16_e32 v67, v34, v11
	v_sub_f16_e32 v68, v34, v11
	v_add_f16_e32 v11, v22, v24
	v_fma_f16 v42, v31, s14, -v16
	v_add_f16_e32 v44, v14, v36
	v_sub_f16_e32 v70, v14, v36
	s_waitcnt lgkmcnt(0)
	v_fma_f16 v11, v11, -0.5, v35
	v_sub_f16_sdwa v14, v9, v26 dst_sel:DWORD dst_unused:UNUSED_PAD src0_sel:WORD_1 src1_sel:WORD_1
	v_add_f16_e32 v25, v20, v23
	v_add_f16_e32 v41, v27, v40
	;; [unrolled: 1-line block ×4, first 2 shown]
	v_sub_f16_e32 v18, v20, v23
	v_sub_f16_e32 v20, v27, v40
	;; [unrolled: 1-line block ×4, first 2 shown]
	v_fma_f16 v36, v14, s13, v11
	v_sub_f16_sdwa v38, v22, v24 dst_sel:DWORD dst_unused:UNUSED_PAD src0_sel:WORD_1 src1_sel:WORD_1
	v_sub_f16_e32 v40, v26, v24
	v_sub_f16_e32 v42, v9, v22
	v_fma_f16 v11, v14, s1, v11
	v_fma_f16 v36, v38, s14, v36
	v_add_f16_e32 v40, v42, v40
	v_fma_f16 v11, v38, s0, v11
	v_fma_f16 v36, v40, s12, v36
	v_fma_f16 v11, v40, s12, v11
	v_add_f16_e32 v40, v9, v26
	v_fma_f16 v40, v40, -0.5, v35
	v_fma_f16 v42, v38, s1, v40
	v_sub_f16_e32 v46, v24, v26
	v_sub_f16_e32 v47, v22, v9
	v_fma_f16 v38, v38, s13, v40
	v_fma_f16 v42, v14, s14, v42
	v_add_f16_e32 v46, v47, v46
	v_fma_f16 v14, v14, s0, v38
	v_pk_add_f16 v38, v35, v9
	v_add_f16_sdwa v40, v22, v24 dst_sel:DWORD dst_unused:UNUSED_PAD src0_sel:WORD_1 src1_sel:WORD_1
	v_lshrrev_b32_e32 v35, 16, v35
	v_fma_f16 v42, v46, s12, v42
	v_fma_f16 v14, v46, s12, v14
	v_fma_f16 v40, v40, -0.5, v35
	v_sub_f16_e32 v46, v9, v26
	v_fma_f16 v47, v46, s1, v40
	v_sub_f16_e32 v49, v22, v24
	v_sub_f16_sdwa v50, v9, v22 dst_sel:DWORD dst_unused:UNUSED_PAD src0_sel:WORD_1 src1_sel:WORD_1
	v_sub_f16_sdwa v51, v26, v24 dst_sel:DWORD dst_unused:UNUSED_PAD src0_sel:WORD_1 src1_sel:WORD_1
	v_fma_f16 v40, v46, s13, v40
	v_add_f16_e32 v45, v7, v8
	v_sub_f16_e32 v69, v7, v8
	v_mul_u32_u24_e32 v7, 10, v110
	v_fma_f16 v47, v49, s0, v47
	v_add_f16_e32 v50, v50, v51
	v_fma_f16 v40, v49, s14, v40
	v_add_f16_e32 v39, v30, v33
	v_sub_f16_e32 v19, v30, v33
	v_add_lshl_u32 v64, v114, v7, 2
	ds_read2_b32 v[7:8], v92 offset0:48 offset1:64
	ds_read2_b32 v[27:28], v92 offset0:144 offset1:160
	;; [unrolled: 1-line block ×5, first 2 shown]
	v_fma_f16 v47, v50, s12, v47
	v_fma_f16 v40, v50, s12, v40
	v_add_f16_sdwa v50, v9, v26 dst_sel:DWORD dst_unused:UNUSED_PAD src0_sel:WORD_1 src1_sel:WORD_1
	v_pk_add_f16 v38, v38, v22
	v_fma_f16 v35, v50, -0.5, v35
	v_pk_add_f16 v38, v38, v24
	v_fma_f16 v50, v49, s13, v35
	v_sub_f16_sdwa v9, v22, v9 dst_sel:DWORD dst_unused:UNUSED_PAD src0_sel:WORD_1 src1_sel:WORD_1
	v_sub_f16_sdwa v22, v24, v26 dst_sel:DWORD dst_unused:UNUSED_PAD src0_sel:WORD_1 src1_sel:WORD_1
	v_fma_f16 v24, v49, s1, v35
	v_fma_f16 v50, v46, s0, v50
	v_add_f16_e32 v9, v9, v22
	v_fma_f16 v24, v46, s14, v24
	v_fma_f16 v22, v9, s12, v50
	;; [unrolled: 1-line block ×3, first 2 shown]
	s_waitcnt lgkmcnt(1)
	v_add_f16_e32 v24, v29, v31
	v_pk_add_f16 v38, v38, v26
	v_fma_f16 v24, v24, -0.5, v7
	s_waitcnt lgkmcnt(0)
	v_sub_f16_sdwa v26, v27, v33 dst_sel:DWORD dst_unused:UNUSED_PAD src0_sel:WORD_1 src1_sel:WORD_1
	v_fma_f16 v35, v26, s13, v24
	v_sub_f16_sdwa v46, v29, v31 dst_sel:DWORD dst_unused:UNUSED_PAD src0_sel:WORD_1 src1_sel:WORD_1
	v_sub_f16_e32 v49, v33, v31
	v_sub_f16_e32 v50, v27, v29
	v_fma_f16 v24, v26, s1, v24
	v_fma_f16 v35, v46, s14, v35
	v_add_f16_e32 v49, v50, v49
	v_fma_f16 v24, v46, s0, v24
	v_fma_f16 v35, v49, s12, v35
	;; [unrolled: 1-line block ×3, first 2 shown]
	v_add_f16_e32 v49, v27, v33
	v_fma_f16 v49, v49, -0.5, v7
	v_fma_f16 v50, v46, s1, v49
	v_sub_f16_e32 v51, v31, v33
	v_sub_f16_e32 v52, v29, v27
	v_fma_f16 v46, v46, s13, v49
	v_fma_f16 v50, v26, s14, v50
	v_add_f16_e32 v51, v52, v51
	v_fma_f16 v26, v26, s0, v46
	v_pk_add_f16 v46, v7, v27
	v_add_f16_sdwa v49, v29, v31 dst_sel:DWORD dst_unused:UNUSED_PAD src0_sel:WORD_1 src1_sel:WORD_1
	v_lshrrev_b32_e32 v7, 16, v7
	v_fma_f16 v50, v51, s12, v50
	v_fma_f16 v26, v51, s12, v26
	v_fma_f16 v49, v49, -0.5, v7
	v_sub_f16_e32 v51, v27, v33
	v_fma_f16 v52, v51, s1, v49
	v_sub_f16_e32 v53, v29, v31
	v_sub_f16_sdwa v54, v27, v29 dst_sel:DWORD dst_unused:UNUSED_PAD src0_sel:WORD_1 src1_sel:WORD_1
	v_sub_f16_sdwa v55, v33, v31 dst_sel:DWORD dst_unused:UNUSED_PAD src0_sel:WORD_1 src1_sel:WORD_1
	v_fma_f16 v49, v51, s13, v49
	v_fma_f16 v52, v53, s0, v52
	v_add_f16_e32 v54, v54, v55
	v_fma_f16 v49, v53, s14, v49
	v_fma_f16 v52, v54, s12, v52
	;; [unrolled: 1-line block ×3, first 2 shown]
	v_add_f16_sdwa v54, v27, v33 dst_sel:DWORD dst_unused:UNUSED_PAD src0_sel:WORD_1 src1_sel:WORD_1
	v_fma_f16 v7, v54, -0.5, v7
	v_pk_add_f16 v46, v46, v29
	v_fma_f16 v54, v53, s13, v7
	v_sub_f16_sdwa v27, v29, v27 dst_sel:DWORD dst_unused:UNUSED_PAD src0_sel:WORD_1 src1_sel:WORD_1
	v_sub_f16_sdwa v29, v31, v33 dst_sel:DWORD dst_unused:UNUSED_PAD src0_sel:WORD_1 src1_sel:WORD_1
	v_fma_f16 v7, v53, s1, v7
	v_fma_f16 v54, v51, s0, v54
	v_add_f16_e32 v27, v27, v29
	v_fma_f16 v7, v51, s14, v7
	v_fma_f16 v29, v27, s12, v54
	;; [unrolled: 1-line block ×3, first 2 shown]
	v_mul_f16_e32 v7, 0x3a79, v35
	v_pk_add_f16 v46, v46, v31
	v_fma_f16 v31, v52, s14, v7
	v_mul_f16_e32 v7, 0x3b9c, v29
	v_fma_f16 v51, v50, s12, v7
	v_mul_f16_e32 v7, 0x34f2, v26
	v_fma_f16 v54, v27, s13, -v7
	v_mul_f16_e32 v7, 0x3a79, v24
	v_fma_f16 v56, v49, s14, -v7
	v_pk_add_f16 v46, v46, v33
	v_add_f16_e32 v33, v36, v31
	v_add_f16_e32 v53, v42, v51
	;; [unrolled: 1-line block ×3, first 2 shown]
	v_mul_f16_e32 v50, 0xbb9c, v50
	v_sub_f16_e32 v31, v36, v31
	v_sub_f16_e32 v36, v42, v51
	;; [unrolled: 1-line block ×3, first 2 shown]
	v_mul_u32_u24_e32 v11, 10, v3
	v_mul_f16_e32 v35, 0xb8b4, v35
	v_fma_f16 v29, v29, s12, v50
	v_mul_f16_e32 v27, 0x34f2, v27
	v_mul_f16_e32 v49, 0x3a79, v49
	v_add_lshl_u32 v65, v114, v11, 2
	v_add_f16_e32 v11, v13, v15
	v_fma_f16 v35, v52, s15, v35
	v_add_f16_e32 v50, v22, v29
	v_fma_f16 v26, v26, s1, -v27
	v_fma_f16 v24, v24, s0, -v49
	v_sub_f16_e32 v22, v22, v29
	v_fma_f16 v11, v11, -0.5, v6
	v_sub_f16_sdwa v29, v10, v17 dst_sel:DWORD dst_unused:UNUSED_PAD src0_sel:WORD_1 src1_sel:WORD_1
	v_pk_add_f16 v7, v38, v46
	v_add_f16_e32 v52, v47, v35
	v_add_f16_e32 v27, v9, v26
	v_add_f16_e32 v49, v40, v24
	v_sub_f16_e32 v35, v47, v35
	v_sub_f16_e32 v26, v9, v26
	;; [unrolled: 1-line block ×3, first 2 shown]
	v_pk_add_f16 v9, v38, v46 neg_lo:[0,1] neg_hi:[0,1]
	v_fma_f16 v38, v29, s13, v11
	v_sub_f16_sdwa v40, v13, v15 dst_sel:DWORD dst_unused:UNUSED_PAD src0_sel:WORD_1 src1_sel:WORD_1
	v_sub_f16_e32 v46, v17, v15
	v_sub_f16_e32 v47, v10, v13
	v_fma_f16 v11, v29, s1, v11
	v_fma_f16 v38, v40, s14, v38
	v_add_f16_e32 v46, v47, v46
	v_fma_f16 v11, v40, s0, v11
	v_fma_f16 v38, v46, s12, v38
	;; [unrolled: 1-line block ×3, first 2 shown]
	v_add_f16_e32 v46, v10, v17
	v_fma_f16 v46, v46, -0.5, v6
	v_add_f16_e32 v55, v14, v54
	v_sub_f16_e32 v14, v14, v54
	v_fma_f16 v47, v40, s1, v46
	v_sub_f16_e32 v51, v15, v17
	v_sub_f16_e32 v54, v13, v10
	v_fma_f16 v40, v40, s13, v46
	v_fma_f16 v47, v29, s14, v47
	v_add_f16_e32 v51, v54, v51
	v_fma_f16 v29, v29, s0, v40
	v_pk_add_f16 v40, v6, v10
	v_add_f16_sdwa v46, v13, v15 dst_sel:DWORD dst_unused:UNUSED_PAD src0_sel:WORD_1 src1_sel:WORD_1
	v_lshrrev_b32_e32 v6, 16, v6
	v_fma_f16 v47, v51, s12, v47
	v_fma_f16 v29, v51, s12, v29
	v_fma_f16 v46, v46, -0.5, v6
	v_sub_f16_e32 v51, v10, v17
	v_fma_f16 v54, v51, s1, v46
	v_sub_f16_e32 v56, v13, v15
	v_sub_f16_sdwa v58, v10, v13 dst_sel:DWORD dst_unused:UNUSED_PAD src0_sel:WORD_1 src1_sel:WORD_1
	v_sub_f16_sdwa v59, v17, v15 dst_sel:DWORD dst_unused:UNUSED_PAD src0_sel:WORD_1 src1_sel:WORD_1
	v_fma_f16 v46, v51, s13, v46
	v_fma_f16 v54, v56, s0, v54
	v_add_f16_e32 v58, v58, v59
	v_fma_f16 v46, v56, s14, v46
	v_fma_f16 v54, v58, s12, v54
	v_fma_f16 v46, v58, s12, v46
	v_add_f16_sdwa v58, v10, v17 dst_sel:DWORD dst_unused:UNUSED_PAD src0_sel:WORD_1 src1_sel:WORD_1
	v_fma_f16 v6, v58, -0.5, v6
	v_pk_add_f16 v40, v40, v13
	v_fma_f16 v58, v56, s13, v6
	v_sub_f16_sdwa v10, v13, v10 dst_sel:DWORD dst_unused:UNUSED_PAD src0_sel:WORD_1 src1_sel:WORD_1
	v_sub_f16_sdwa v13, v15, v17 dst_sel:DWORD dst_unused:UNUSED_PAD src0_sel:WORD_1 src1_sel:WORD_1
	v_fma_f16 v6, v56, s1, v6
	v_fma_f16 v58, v51, s0, v58
	v_add_f16_e32 v10, v10, v13
	v_fma_f16 v6, v51, s14, v6
	v_fma_f16 v13, v10, s12, v58
	;; [unrolled: 1-line block ×3, first 2 shown]
	v_add_f16_e32 v6, v30, v32
	v_pk_add_f16 v40, v40, v15
	v_fma_f16 v6, v6, -0.5, v8
	v_sub_f16_sdwa v15, v28, v34 dst_sel:DWORD dst_unused:UNUSED_PAD src0_sel:WORD_1 src1_sel:WORD_1
	v_pk_add_f16 v40, v40, v17
	v_fma_f16 v17, v15, s13, v6
	v_sub_f16_sdwa v51, v30, v32 dst_sel:DWORD dst_unused:UNUSED_PAD src0_sel:WORD_1 src1_sel:WORD_1
	v_sub_f16_e32 v56, v34, v32
	v_sub_f16_e32 v58, v28, v30
	v_fma_f16 v6, v15, s1, v6
	v_fma_f16 v17, v51, s14, v17
	v_add_f16_e32 v56, v58, v56
	v_fma_f16 v6, v51, s0, v6
	v_fma_f16 v17, v56, s12, v17
	v_fma_f16 v56, v56, s12, v6
	v_add_f16_e32 v6, v28, v34
	v_fma_f16 v6, v6, -0.5, v8
	v_fma_f16 v58, v51, s1, v6
	v_sub_f16_e32 v59, v32, v34
	v_sub_f16_e32 v60, v30, v28
	v_fma_f16 v6, v51, s13, v6
	v_add_f16_e32 v59, v60, v59
	v_fma_f16 v6, v15, s0, v6
	v_fma_f16 v58, v15, s14, v58
	;; [unrolled: 1-line block ×3, first 2 shown]
	v_pk_add_f16 v6, v8, v28
	v_pk_add_f16 v6, v6, v30
	;; [unrolled: 1-line block ×4, first 2 shown]
	v_add_f16_sdwa v6, v30, v32 dst_sel:DWORD dst_unused:UNUSED_PAD src0_sel:WORD_1 src1_sel:WORD_1
	v_lshrrev_b32_e32 v8, 16, v8
	v_fma_f16 v58, v59, s12, v58
	v_fma_f16 v6, v6, -0.5, v8
	v_sub_f16_e32 v59, v28, v34
	v_fma_f16 v60, v59, s1, v6
	v_sub_f16_e32 v61, v30, v32
	v_sub_f16_sdwa v62, v28, v30 dst_sel:DWORD dst_unused:UNUSED_PAD src0_sel:WORD_1 src1_sel:WORD_1
	v_sub_f16_sdwa v66, v34, v32 dst_sel:DWORD dst_unused:UNUSED_PAD src0_sel:WORD_1 src1_sel:WORD_1
	v_fma_f16 v6, v59, s13, v6
	v_fma_f16 v60, v61, s0, v60
	v_add_f16_e32 v62, v62, v66
	v_fma_f16 v6, v61, s14, v6
	v_fma_f16 v60, v62, s12, v60
	;; [unrolled: 1-line block ×3, first 2 shown]
	v_add_f16_sdwa v6, v28, v34 dst_sel:DWORD dst_unused:UNUSED_PAD src0_sel:WORD_1 src1_sel:WORD_1
	v_fma_f16 v6, v6, -0.5, v8
	v_fma_f16 v8, v61, s13, v6
	v_sub_f16_sdwa v28, v30, v28 dst_sel:DWORD dst_unused:UNUSED_PAD src0_sel:WORD_1 src1_sel:WORD_1
	v_sub_f16_sdwa v30, v32, v34 dst_sel:DWORD dst_unused:UNUSED_PAD src0_sel:WORD_1 src1_sel:WORD_1
	v_fma_f16 v6, v61, s1, v6
	v_fma_f16 v8, v59, s0, v8
	v_add_f16_e32 v28, v28, v30
	v_fma_f16 v6, v59, s14, v6
	v_fma_f16 v8, v28, s12, v8
	;; [unrolled: 1-line block ×3, first 2 shown]
	v_mul_f16_e32 v6, 0x3a79, v17
	v_fma_f16 v30, v60, s14, v6
	v_mul_f16_e32 v6, 0x3b9c, v8
	v_fma_f16 v34, v58, s12, v6
	v_mul_f16_e32 v6, 0x34f2, v15
	v_fma_f16 v61, v28, s13, -v6
	v_mul_f16_e32 v6, 0x3a79, v56
	v_mul_f16_e32 v58, 0xbb9c, v58
	v_mul_f16_e32 v28, 0x34f2, v28
	v_fma_f16 v72, v62, s14, -v6
	v_fma_f16 v8, v8, s12, v58
	v_fma_f16 v15, v15, s1, -v28
	v_add_f16_e32 v32, v38, v30
	v_add_f16_e32 v73, v11, v72
	v_mul_f16_e32 v17, 0xb8b4, v17
	v_add_f16_e32 v58, v13, v8
	v_add_f16_e32 v28, v10, v15
	v_sub_f16_e32 v30, v38, v30
	v_sub_f16_e32 v38, v11, v72
	;; [unrolled: 1-line block ×4, first 2 shown]
	v_pack_b32_f16 v8, v33, v52
	v_pack_b32_f16 v11, v55, v27
	;; [unrolled: 1-line block ×3, first 2 shown]
	v_fma_f16 v17, v60, s15, v17
	v_mul_f16_e32 v62, 0x3a79, v62
	s_waitcnt lgkmcnt(0)
	; wave barrier
	ds_write2_b64 v64, v[7:8], v[10:11] offset1:1
	v_pack_b32_f16 v10, v31, v35
	v_pack_b32_f16 v11, v36, v22
	;; [unrolled: 1-line block ×3, first 2 shown]
	v_add_f16_e32 v59, v47, v34
	v_add_f16_e32 v66, v29, v61
	v_add_f16_e32 v60, v54, v17
	v_fma_f16 v56, v56, s0, -v62
	ds_write2_b64 v64, v[8:9], v[10:11] offset0:2 offset1:3
	v_pack_b32_f16 v8, v42, v24
	v_pack_b32_f16 v7, v14, v26
	v_pk_add_f16 v6, v40, v51
	v_add_f16_e32 v62, v46, v56
	v_sub_f16_e32 v34, v47, v34
	v_sub_f16_e32 v17, v54, v17
	ds_write_b64 v64, v[7:8] offset:32
	v_pack_b32_f16 v7, v32, v60
	v_pack_b32_f16 v9, v66, v28
	;; [unrolled: 1-line block ×3, first 2 shown]
	v_sub_f16_e32 v29, v29, v61
	v_sub_f16_e32 v46, v46, v56
	ds_write2_b64 v65, v[6:7], v[8:9] offset1:1
	v_pk_add_f16 v7, v40, v51 neg_lo:[0,1] neg_hi:[0,1]
	v_pack_b32_f16 v8, v30, v17
	v_pack_b32_f16 v9, v34, v13
	;; [unrolled: 1-line block ×3, first 2 shown]
	ds_write2_b64 v65, v[6:7], v[8:9] offset0:2 offset1:3
	v_pack_b32_f16 v7, v38, v46
	v_pack_b32_f16 v6, v29, v15
	ds_write_b64 v65, v[6:7] offset:32
	v_mul_u32_u24_e32 v6, 10, v12
	v_pk_add_f16 v23, v5, v37 neg_lo:[0,1] neg_hi:[0,1]
	v_add_lshl_u32 v66, v114, v6, 2
	v_pk_add_f16 v5, v5, v37
	v_pack_b32_f16 v6, v25, v43
	v_pack_b32_f16 v8, v41, v45
	;; [unrolled: 1-line block ×3, first 2 shown]
	ds_write2_b64 v66, v[5:6], v[7:8] offset1:1
	v_pack_b32_f16 v5, v18, v71
	v_pack_b32_f16 v6, v19, v70
	;; [unrolled: 1-line block ×3, first 2 shown]
	ds_write2_b64 v66, v[22:23], v[5:6] offset0:2 offset1:3
	v_pack_b32_f16 v6, v21, v68
	v_pack_b32_f16 v5, v20, v69
	ds_write_b64 v66, v[5:6] offset:32
	s_waitcnt lgkmcnt(0)
	; wave barrier
	s_waitcnt lgkmcnt(0)
	ds_read2_b32 v[61:62], v92 offset0:60 offset1:76
	ds_read2_b32 v[30:31], v92 offset0:92 offset1:120
	;; [unrolled: 1-line block ×9, first 2 shown]
	ds_read2_b32 v[49:50], v4 offset1:16
	ds_read2_b32 v[34:35], v4 offset0:120 offset1:136
	ds_read_b32 v22, v113
	ds_read_b32 v72, v92 offset:1808
	v_cmp_gt_u64_e32 vcc, 60, v[0:1]
	v_add_co_u32_e64 v51, s[0:1], s8, v63
	v_addc_co_u32_e64 v52, s[0:1], 0, v2, s[0:1]
                                        ; implicit-def: $vgpr33
                                        ; implicit-def: $vgpr73
	s_and_saveexec_b64 s[0:1], vcc
	s_cbranch_execz .LBB0_3
; %bb.2:
	ds_read2_b32 v[16:17], v92 offset0:48 offset1:108
	ds_read2_b32 v[18:19], v92 offset0:168 offset1:228
	;; [unrolled: 1-line block ×4, first 2 shown]
	s_waitcnt lgkmcnt(3)
	v_lshrrev_b32_e32 v67, 16, v16
	s_waitcnt lgkmcnt(2)
	v_lshrrev_b32_e32 v71, 16, v18
	v_lshrrev_b32_e32 v70, 16, v19
	s_waitcnt lgkmcnt(1)
	v_lshrrev_b32_e32 v69, 16, v20
	;; [unrolled: 3-line block ×3, first 2 shown]
	v_lshrrev_b32_e32 v73, 16, v33
	v_mov_b32_e32 v23, v17
.LBB0_3:
	s_or_b64 exec, exec, s[0:1]
	v_add_u32_e32 v1, -10, v110
	v_cmp_gt_u32_e64 s[0:1], 10, v110
	v_cndmask_b32_e64 v75, v1, v110, s[0:1]
	v_mul_i32_i24_e32 v1, 28, v75
	v_mul_hi_i32_i24_e32 v2, 28, v75
	v_mov_b32_e32 v4, s11
	v_add_co_u32_e64 v1, s[0:1], s10, v1
	v_addc_co_u32_e64 v2, s[0:1], v4, v2, s[0:1]
	v_mul_lo_u16_e32 v76, 26, v3
	v_mov_b32_e32 v17, 10
	global_load_dwordx4 v[4:7], v[1:2], off
	global_load_dwordx3 v[39:41], v[1:2], off offset:16
	v_mul_lo_u16_sdwa v1, v76, v17 dst_sel:DWORD dst_unused:UNUSED_PAD src0_sel:BYTE_1 src1_sel:DWORD
	v_sub_u16_e32 v77, v3, v1
	v_and_b32_e32 v1, 0xff, v77
	v_mad_u64_u32 v[1:2], s[0:1], v1, 28, s[10:11]
	v_mul_lo_u16_e32 v121, 26, v12
	v_mul_lo_u16_e32 v115, 26, v0
	global_load_dwordx4 v[8:11], v[1:2], off
	global_load_dwordx3 v[42:44], v[1:2], off offset:16
	v_mul_lo_u16_sdwa v1, v121, v17 dst_sel:DWORD dst_unused:UNUSED_PAD src0_sel:BYTE_1 src1_sel:DWORD
	v_sub_u16_e32 v1, v12, v1
	v_and_b32_e32 v126, 0xff, v1
	v_mad_u64_u32 v[1:2], s[0:1], v126, 28, s[10:11]
	v_mul_lo_u16_sdwa v3, v115, v17 dst_sel:DWORD dst_unused:UNUSED_PAD src0_sel:BYTE_1 src1_sel:DWORD
	v_sub_u16_e32 v0, v0, v3
	global_load_dwordx4 v[12:15], v[1:2], off
	global_load_dwordx3 v[45:47], v[1:2], off offset:16
	v_and_b32_e32 v116, 0xff, v0
	v_mad_u64_u32 v[36:37], s[0:1], v116, 28, s[10:11]
	global_load_dwordx4 v[0:3], v[36:37], off
	s_nop 0
	global_load_dwordx3 v[36:38], v[36:37], off offset:16
	s_waitcnt lgkmcnt(12)
	v_lshrrev_b32_e32 v79, 16, v61
	s_waitcnt lgkmcnt(6)
	v_lshrrev_b32_e32 v122, 16, v55
	v_lshrrev_b32_e32 v124, 16, v62
	s_waitcnt lgkmcnt(4)
	v_lshrrev_b32_e32 v125, 16, v53
	;; [unrolled: 3-line block ×4, first 2 shown]
	v_lshrrev_b32_e32 v131, 16, v56
	v_lshrrev_b32_e32 v133, 16, v30
	;; [unrolled: 1-line block ×7, first 2 shown]
	s_waitcnt lgkmcnt(0)
	v_lshrrev_b32_e32 v138, 16, v72
	v_lshrrev_b32_e32 v80, 16, v31
	;; [unrolled: 1-line block ×7, first 2 shown]
	s_mov_b32 s12, 0xb9a8
	s_movk_i32 s13, 0x39a8
	v_lshrrev_b32_e32 v123, 16, v24
	v_lshrrev_b32_e32 v132, 16, v25
	v_cmp_lt_u32_e64 s[0:1], 9, v110
	s_waitcnt lgkmcnt(0)
	; wave barrier
	s_movk_i32 s14, 0x50
	s_waitcnt vmcnt(7)
	v_mul_f16_sdwa v139, v79, v4 dst_sel:DWORD dst_unused:UNUSED_PAD src0_sel:DWORD src1_sel:WORD_1
	s_waitcnt vmcnt(6)
	v_mul_f16_sdwa v151, v122, v41 dst_sel:DWORD dst_unused:UNUSED_PAD src0_sel:DWORD src1_sel:WORD_1
	v_mul_f16_sdwa v140, v61, v4 dst_sel:DWORD dst_unused:UNUSED_PAD src0_sel:DWORD src1_sel:WORD_1
	v_fma_f16 v61, v61, v4, -v139
	v_fma_f16 v139, v55, v41, -v151
	v_mul_f16_sdwa v55, v55, v41 dst_sel:DWORD dst_unused:UNUSED_PAD src0_sel:DWORD src1_sel:WORD_1
	v_fma_f16 v55, v122, v41, v55
	v_fma_f16 v79, v79, v4, v140
	v_mul_f16_sdwa v141, v80, v5 dst_sel:DWORD dst_unused:UNUSED_PAD src0_sel:DWORD src1_sel:WORD_1
	s_waitcnt vmcnt(5)
	v_mul_f16_sdwa v122, v124, v8 dst_sel:DWORD dst_unused:UNUSED_PAD src0_sel:DWORD src1_sel:WORD_1
	v_fma_f16 v122, v62, v8, -v122
	v_mul_f16_sdwa v62, v62, v8 dst_sel:DWORD dst_unused:UNUSED_PAD src0_sel:DWORD src1_sel:WORD_1
	v_fma_f16 v62, v124, v8, v62
	v_mul_f16_sdwa v124, v125, v9 dst_sel:DWORD dst_unused:UNUSED_PAD src0_sel:DWORD src1_sel:WORD_1
	v_fma_f16 v124, v53, v9, -v124
	v_mul_f16_sdwa v53, v53, v9 dst_sel:DWORD dst_unused:UNUSED_PAD src0_sel:DWORD src1_sel:WORD_1
	v_fma_f16 v53, v125, v9, v53
	;; [unrolled: 4-line block ×4, first 2 shown]
	s_waitcnt vmcnt(4)
	v_mul_f16_sdwa v128, v129, v42 dst_sel:DWORD dst_unused:UNUSED_PAD src0_sel:DWORD src1_sel:WORD_1
	v_fma_f16 v128, v58, v42, -v128
	v_mul_f16_sdwa v58, v58, v42 dst_sel:DWORD dst_unused:UNUSED_PAD src0_sel:DWORD src1_sel:WORD_1
	v_fma_f16 v58, v129, v42, v58
	v_mul_f16_sdwa v129, v130, v43 dst_sel:DWORD dst_unused:UNUSED_PAD src0_sel:DWORD src1_sel:WORD_1
	v_fma_f16 v129, v34, v43, -v129
	v_mul_f16_sdwa v34, v34, v43 dst_sel:DWORD dst_unused:UNUSED_PAD src0_sel:DWORD src1_sel:WORD_1
	v_fma_f16 v34, v130, v43, v34
	;; [unrolled: 4-line block ×3, first 2 shown]
	s_waitcnt vmcnt(3)
	v_mul_f16_sdwa v131, v133, v12 dst_sel:DWORD dst_unused:UNUSED_PAD src0_sel:DWORD src1_sel:WORD_1
	v_fma_f16 v131, v30, v12, -v131
	v_mul_f16_sdwa v30, v30, v12 dst_sel:DWORD dst_unused:UNUSED_PAD src0_sel:DWORD src1_sel:WORD_1
	v_fma_f16 v30, v133, v12, v30
	v_mul_f16_sdwa v133, v134, v13 dst_sel:DWORD dst_unused:UNUSED_PAD src0_sel:DWORD src1_sel:WORD_1
	v_fma_f16 v133, v54, v13, -v133
	v_mul_f16_sdwa v54, v54, v13 dst_sel:DWORD dst_unused:UNUSED_PAD src0_sel:DWORD src1_sel:WORD_1
	v_fma_f16 v54, v134, v13, v54
	;; [unrolled: 4-line block ×4, first 2 shown]
	s_waitcnt vmcnt(2)
	v_mul_f16_sdwa v136, v17, v45 dst_sel:DWORD dst_unused:UNUSED_PAD src0_sel:DWORD src1_sel:WORD_1
	v_fma_f16 v136, v26, v45, -v136
	v_mul_f16_sdwa v26, v26, v45 dst_sel:DWORD dst_unused:UNUSED_PAD src0_sel:DWORD src1_sel:WORD_1
	v_fma_f16 v17, v17, v45, v26
	v_mul_f16_sdwa v26, v137, v46 dst_sel:DWORD dst_unused:UNUSED_PAD src0_sel:DWORD src1_sel:WORD_1
	v_fma_f16 v26, v35, v46, -v26
	v_mul_f16_sdwa v35, v35, v46 dst_sel:DWORD dst_unused:UNUSED_PAD src0_sel:DWORD src1_sel:WORD_1
	v_fma_f16 v35, v137, v46, v35
	;; [unrolled: 4-line block ×3, first 2 shown]
	v_lshrrev_b32_e32 v138, 16, v23
	s_waitcnt vmcnt(1)
	v_mul_f16_sdwa v140, v138, v0 dst_sel:DWORD dst_unused:UNUSED_PAD src0_sel:DWORD src1_sel:WORD_1
	v_fma_f16 v140, v23, v0, -v140
	v_mul_f16_sdwa v23, v23, v0 dst_sel:DWORD dst_unused:UNUSED_PAD src0_sel:DWORD src1_sel:WORD_1
	v_fma_f16 v138, v138, v0, v23
	v_mul_f16_sdwa v23, v71, v1 dst_sel:DWORD dst_unused:UNUSED_PAD src0_sel:DWORD src1_sel:WORD_1
	v_fma_f16 v23, v18, v1, -v23
	v_mul_f16_sdwa v18, v18, v1 dst_sel:DWORD dst_unused:UNUSED_PAD src0_sel:DWORD src1_sel:WORD_1
	v_fma_f16 v71, v71, v1, v18
	v_mul_f16_sdwa v18, v70, v2 dst_sel:DWORD dst_unused:UNUSED_PAD src0_sel:DWORD src1_sel:WORD_1
	v_mul_f16_sdwa v142, v31, v5 dst_sel:DWORD dst_unused:UNUSED_PAD src0_sel:DWORD src1_sel:WORD_1
	v_fma_f16 v31, v31, v5, -v141
	v_fma_f16 v141, v19, v2, -v18
	v_mul_f16_sdwa v18, v19, v2 dst_sel:DWORD dst_unused:UNUSED_PAD src0_sel:DWORD src1_sel:WORD_1
	v_fma_f16 v70, v70, v2, v18
	v_mul_f16_sdwa v18, v69, v3 dst_sel:DWORD dst_unused:UNUSED_PAD src0_sel:DWORD src1_sel:WORD_1
	v_fma_f16 v18, v20, v3, -v18
	v_mul_f16_sdwa v19, v20, v3 dst_sel:DWORD dst_unused:UNUSED_PAD src0_sel:DWORD src1_sel:WORD_1
	s_waitcnt vmcnt(0)
	v_mul_f16_sdwa v20, v68, v36 dst_sel:DWORD dst_unused:UNUSED_PAD src0_sel:DWORD src1_sel:WORD_1
	v_fma_f16 v20, v21, v36, -v20
	v_mul_f16_sdwa v21, v21, v36 dst_sel:DWORD dst_unused:UNUSED_PAD src0_sel:DWORD src1_sel:WORD_1
	v_fma_f16 v68, v68, v36, v21
	v_mul_f16_sdwa v21, v74, v37 dst_sel:DWORD dst_unused:UNUSED_PAD src0_sel:DWORD src1_sel:WORD_1
	v_fma_f16 v19, v69, v3, v19
	v_fma_f16 v69, v32, v37, -v21
	v_mul_f16_sdwa v21, v32, v37 dst_sel:DWORD dst_unused:UNUSED_PAD src0_sel:DWORD src1_sel:WORD_1
	v_mul_f16_sdwa v143, v117, v6 dst_sel:DWORD dst_unused:UNUSED_PAD src0_sel:DWORD src1_sel:WORD_1
	;; [unrolled: 1-line block ×7, first 2 shown]
	v_fma_f16 v32, v74, v37, v21
	v_mul_f16_sdwa v21, v73, v38 dst_sel:DWORD dst_unused:UNUSED_PAD src0_sel:DWORD src1_sel:WORD_1
	v_mul_f16_sdwa v144, v59, v6 dst_sel:DWORD dst_unused:UNUSED_PAD src0_sel:DWORD src1_sel:WORD_1
	;; [unrolled: 1-line block ×3, first 2 shown]
	v_fma_f16 v59, v59, v6, -v143
	v_fma_f16 v29, v29, v7, -v145
	v_fma_f16 v118, v118, v7, v146
	v_fma_f16 v57, v57, v39, -v147
	v_fma_f16 v119, v119, v39, v148
	v_fma_f16 v27, v27, v40, -v149
	v_fma_f16 v74, v33, v38, -v21
	v_mul_f16_sdwa v21, v33, v38 dst_sel:DWORD dst_unused:UNUSED_PAD src0_sel:DWORD src1_sel:WORD_1
	v_fma_f16 v33, v73, v38, v21
	v_sub_f16_e32 v21, v22, v29
	v_sub_f16_e32 v29, v78, v118
	v_sub_f16_e32 v27, v31, v27
	v_sub_f16_e32 v57, v61, v57
	v_sub_f16_e32 v118, v79, v119
	v_sub_f16_e32 v119, v59, v139
	v_fma_f16 v80, v80, v5, v142
	v_fma_f16 v117, v117, v6, v144
	;; [unrolled: 1-line block ×3, first 2 shown]
	v_fma_f16 v22, v22, 2.0, -v21
	v_fma_f16 v31, v31, 2.0, -v27
	v_fma_f16 v61, v61, 2.0, -v57
	v_fma_f16 v59, v59, 2.0, -v119
	v_fma_f16 v73, v78, 2.0, -v29
	v_sub_f16_e32 v78, v80, v120
	v_sub_f16_e32 v55, v117, v55
	;; [unrolled: 1-line block ×4, first 2 shown]
	v_fma_f16 v80, v80, 2.0, -v78
	v_fma_f16 v117, v117, 2.0, -v55
	v_fma_f16 v22, v22, 2.0, -v31
	v_sub_f16_e32 v78, v21, v78
	v_fma_f16 v61, v61, 2.0, -v59
	v_sub_f16_e32 v55, v57, v55
	v_fma_f16 v79, v79, 2.0, -v118
	v_add_f16_e32 v27, v29, v27
	v_fma_f16 v21, v21, 2.0, -v78
	v_add_f16_e32 v119, v118, v119
	v_fma_f16 v57, v57, 2.0, -v55
	v_sub_f16_e32 v61, v22, v61
	v_fma_f16 v29, v29, 2.0, -v27
	v_sub_f16_e32 v117, v79, v117
	v_fma_f16 v118, v118, 2.0, -v119
	v_fma_f16 v120, v22, 2.0, -v61
	v_fma_f16 v22, v57, s12, v21
	v_fma_f16 v79, v79, 2.0, -v117
	v_fma_f16 v139, v118, s12, v29
	v_fma_f16 v118, v118, s12, v22
	v_sub_f16_e32 v117, v31, v117
	v_fma_f16 v22, v119, s13, v27
	v_fma_f16 v57, v57, s13, v139
	v_fma_f16 v139, v21, 2.0, -v118
	v_fma_f16 v143, v31, 2.0, -v117
	v_fma_f16 v21, v55, s13, v78
	v_fma_f16 v55, v55, s13, v22
	v_sub_f16_e32 v22, v123, v49
	v_sub_f16_e32 v31, v53, v34
	v_fma_f16 v142, v29, 2.0, -v57
	v_fma_f16 v119, v119, s12, v21
	v_fma_f16 v144, v27, 2.0, -v55
	v_sub_f16_e32 v21, v24, v127
	v_fma_f16 v27, v123, 2.0, -v22
	v_sub_f16_e32 v29, v124, v129
	;; [unrolled: 2-line block ×3, first 2 shown]
	v_sub_f16_e32 v58, v62, v58
	v_sub_f16_e32 v123, v125, v130
	;; [unrolled: 1-line block ×3, first 2 shown]
	v_fma_f16 v24, v24, 2.0, -v21
	v_fma_f16 v34, v124, 2.0, -v29
	;; [unrolled: 1-line block ×6, first 2 shown]
	v_sub_f16_e32 v34, v24, v34
	v_sub_f16_e32 v49, v27, v49
	;; [unrolled: 1-line block ×4, first 2 shown]
	v_fma_f16 v24, v24, 2.0, -v34
	v_fma_f16 v27, v27, 2.0, -v49
	v_sub_f16_e32 v31, v21, v31
	v_add_f16_e32 v29, v22, v29
	v_fma_f16 v122, v122, 2.0, -v124
	v_fma_f16 v62, v62, 2.0, -v60
	v_sub_f16_e32 v56, v53, v56
	v_add_f16_e32 v123, v58, v123
	v_fma_f16 v21, v21, 2.0, -v31
	v_fma_f16 v22, v22, 2.0, -v29
	;; [unrolled: 1-line block ×4, first 2 shown]
	v_sub_f16_e32 v127, v24, v122
	v_sub_f16_e32 v62, v27, v62
	v_fma_f16 v128, v24, 2.0, -v127
	v_fma_f16 v129, v27, 2.0, -v62
	v_fma_f16 v24, v53, s12, v21
	v_fma_f16 v27, v58, s12, v22
	;; [unrolled: 1-line block ×4, first 2 shown]
	v_fma_f16 v130, v21, 2.0, -v58
	v_fma_f16 v145, v22, 2.0, -v53
	v_fma_f16 v21, v56, s13, v31
	v_fma_f16 v22, v123, s13, v29
	v_add_f16_e32 v146, v49, v124
	v_fma_f16 v148, v123, s12, v21
	v_fma_f16 v56, v56, s13, v22
	v_sub_f16_e32 v21, v25, v135
	v_sub_f16_e32 v22, v132, v50
	;; [unrolled: 1-line block ×6, first 2 shown]
	v_fma_f16 v147, v49, 2.0, -v146
	v_fma_f16 v149, v31, 2.0, -v148
	;; [unrolled: 1-line block ×7, first 2 shown]
	v_sub_f16_e32 v54, v28, v72
	v_fma_f16 v72, v134, 2.0, -v50
	v_sub_f16_e32 v17, v30, v17
	v_sub_f16_e32 v29, v24, v29
	;; [unrolled: 1-line block ×3, first 2 shown]
	v_fma_f16 v25, v132, 2.0, -v22
	v_fma_f16 v30, v30, 2.0, -v17
	;; [unrolled: 1-line block ×4, first 2 shown]
	v_sub_f16_e32 v27, v21, v27
	v_fma_f16 v49, v49, 2.0, -v72
	v_sub_f16_e32 v54, v35, v54
	v_sub_f16_e32 v31, v25, v31
	v_fma_f16 v21, v21, 2.0, -v27
	v_sub_f16_e32 v28, v30, v28
	v_add_f16_e32 v50, v17, v50
	v_fma_f16 v35, v35, 2.0, -v54
	v_sub_f16_e32 v131, v24, v49
	v_fma_f16 v25, v25, 2.0, -v31
	v_add_f16_e32 v26, v22, v26
	v_fma_f16 v30, v30, 2.0, -v28
	v_fma_f16 v17, v17, 2.0, -v50
	;; [unrolled: 1-line block ×3, first 2 shown]
	v_fma_f16 v24, v35, s12, v21
	v_fma_f16 v22, v22, 2.0, -v26
	v_sub_f16_e32 v132, v25, v30
	v_fma_f16 v135, v17, s12, v24
	v_fma_f16 v134, v25, 2.0, -v132
	v_fma_f16 v25, v17, s12, v22
	v_fma_f16 v136, v21, 2.0, -v135
	v_fma_f16 v17, v54, s13, v27
	v_fma_f16 v21, v50, s13, v26
	v_add_f16_e32 v72, v31, v72
	v_fma_f16 v154, v50, s12, v17
	v_fma_f16 v54, v54, s13, v21
	;; [unrolled: 1-line block ×3, first 2 shown]
	v_sub_f16_e32 v151, v29, v28
	v_fma_f16 v153, v31, 2.0, -v72
	v_fma_f16 v155, v27, 2.0, -v154
	;; [unrolled: 1-line block ×3, first 2 shown]
	v_sub_f16_e32 v21, v16, v18
	v_sub_f16_e32 v25, v23, v69
	v_sub_f16_e32 v27, v71, v32
	v_sub_f16_e32 v26, v140, v20
	v_sub_f16_e32 v30, v141, v74
	v_sub_f16_e32 v31, v70, v33
	v_fma_f16 v137, v22, 2.0, -v35
	v_fma_f16 v152, v29, 2.0, -v151
	;; [unrolled: 1-line block ×3, first 2 shown]
	v_sub_f16_e32 v23, v138, v68
	v_fma_f16 v20, v140, 2.0, -v26
	v_fma_f16 v32, v141, 2.0, -v30
	;; [unrolled: 1-line block ×3, first 2 shown]
	v_sub_f16_e32 v29, v21, v27
	v_sub_f16_e32 v31, v26, v31
	;; [unrolled: 1-line block ×4, first 2 shown]
	v_fma_f16 v28, v71, 2.0, -v27
	v_sub_f16_e32 v27, v20, v32
	v_add_f16_e32 v30, v23, v30
	v_fma_f16 v32, v31, s13, v29
	v_fma_f16 v73, v73, 2.0, -v80
	v_fma_f16 v17, v16, 2.0, -v21
	;; [unrolled: 1-line block ×3, first 2 shown]
	v_fma_f16 v50, v30, s12, v32
	v_mov_b32_e32 v32, 0x50
	v_sub_f16_e32 v79, v73, v79
	v_fma_f16 v19, v138, 2.0, -v23
	v_sub_f16_e32 v24, v17, v22
	v_sub_f16_e32 v22, v16, v28
	v_add_f16_e32 v28, v18, v25
	v_cndmask_b32_e64 v32, 0, v32, s[0:1]
	v_fma_f16 v73, v73, 2.0, -v79
	v_add_f16_e32 v59, v80, v59
	v_sub_f16_e32 v25, v19, v33
	v_fma_f16 v33, v30, s13, v28
	v_or_b32_e32 v32, v75, v32
	v_fma_f16 v80, v80, 2.0, -v59
	v_fma_f16 v78, v78, 2.0, -v119
	v_fma_f16 v123, v31, s13, v33
	v_add_lshl_u32 v124, v114, v32, 2
	v_pack_b32_f16 v32, v120, v73
	v_pack_b32_f16 v33, v139, v142
	ds_write2_b32 v124, v32, v33 offset1:10
	v_pack_b32_f16 v32, v143, v80
	v_pack_b32_f16 v33, v78, v144
	ds_write2_b32 v124, v32, v33 offset0:20 offset1:30
	v_pack_b32_f16 v32, v61, v79
	v_pack_b32_f16 v33, v118, v57
	ds_write2_b32 v124, v32, v33 offset0:40 offset1:50
	v_pack_b32_f16 v32, v117, v59
	v_pack_b32_f16 v33, v119, v55
	ds_write2_b32 v124, v32, v33 offset0:60 offset1:70
	v_mul_lo_u16_sdwa v32, v76, s14 dst_sel:DWORD dst_unused:UNUSED_PAD src0_sel:BYTE_1 src1_sel:DWORD
	v_or_b32_e32 v32, v32, v77
	v_sub_f16_e32 v60, v34, v60
	v_and_b32_e32 v32, 0xff, v32
	v_fma_f16 v34, v34, 2.0, -v60
	v_add_lshl_u32 v125, v114, v32, 2
	v_pack_b32_f16 v32, v128, v129
	v_pack_b32_f16 v33, v130, v145
	ds_write2_b32 v125, v32, v33 offset1:10
	v_pack_b32_f16 v32, v34, v147
	v_pack_b32_f16 v33, v149, v150
	ds_write2_b32 v125, v32, v33 offset0:20 offset1:30
	v_pack_b32_f16 v32, v127, v62
	v_pack_b32_f16 v33, v58, v53
	ds_write2_b32 v125, v32, v33 offset0:40 offset1:50
	;; [unrolled: 3-line block ×3, first 2 shown]
	v_mul_u32_u24_sdwa v32, v121, s14 dst_sel:DWORD dst_unused:UNUSED_PAD src0_sel:BYTE_1 src1_sel:DWORD
	v_or_b32_e32 v32, v32, v126
	v_add_lshl_u32 v126, v114, v32, 2
	v_pack_b32_f16 v32, v133, v134
	v_pack_b32_f16 v33, v136, v137
	ds_write2_b32 v126, v32, v33 offset1:10
	v_pack_b32_f16 v32, v152, v153
	v_pack_b32_f16 v33, v155, v156
	ds_write2_b32 v126, v32, v33 offset0:20 offset1:30
	v_pack_b32_f16 v32, v131, v132
	v_pack_b32_f16 v33, v135, v35
	v_sub_f16_e32 v49, v24, v25
	v_add_f16_e32 v122, v22, v27
	ds_write2_b32 v126, v32, v33 offset0:40 offset1:50
	v_pack_b32_f16 v32, v151, v72
	v_pack_b32_f16 v33, v154, v54
	ds_write2_b32 v126, v32, v33 offset0:60 offset1:70
	s_and_saveexec_b64 s[0:1], vcc
	s_cbranch_execz .LBB0_5
; %bb.4:
	v_fma_f16 v21, v21, 2.0, -v29
	v_fma_f16 v26, v26, 2.0, -v31
	v_fma_f16 v32, v29, 2.0, -v50
	v_fma_f16 v29, v26, s12, v21
	v_fma_f16 v23, v23, 2.0, -v30
	v_fma_f16 v18, v18, 2.0, -v28
	v_fma_f16 v29, v23, s12, v29
	v_fma_f16 v23, v23, s12, v18
	v_fma_f16 v17, v17, 2.0, -v24
	v_fma_f16 v20, v20, 2.0, -v27
	;; [unrolled: 1-line block ×5, first 2 shown]
	v_fma_f16 v23, v26, s13, v23
	v_sub_f16_e32 v20, v17, v20
	v_sub_f16_e32 v19, v16, v19
	v_mul_u32_u24_sdwa v22, v115, s14 dst_sel:DWORD dst_unused:UNUSED_PAD src0_sel:BYTE_1 src1_sel:DWORD
	v_fma_f16 v21, v21, 2.0, -v29
	v_fma_f16 v18, v18, 2.0, -v23
	;; [unrolled: 1-line block ×4, first 2 shown]
	v_or_b32_e32 v22, v22, v116
	v_fma_f16 v33, v28, 2.0, -v123
	v_fma_f16 v34, v24, 2.0, -v49
	v_add_lshl_u32 v22, v114, v22, 2
	v_pack_b32_f16 v16, v17, v16
	v_pack_b32_f16 v17, v21, v18
	ds_write2_b32 v22, v16, v17 offset1:10
	v_pack_b32_f16 v16, v34, v35
	v_pack_b32_f16 v17, v32, v33
	ds_write2_b32 v22, v16, v17 offset0:20 offset1:30
	v_pack_b32_f16 v16, v20, v19
	v_pack_b32_f16 v17, v29, v23
	s_mov_b32 s12, 0x5040100
	ds_write2_b32 v22, v16, v17 offset0:40 offset1:50
	v_perm_b32 v16, v122, v49, s12
	v_perm_b32 v17, v123, v50, s12
	ds_write2_b32 v22, v16, v17 offset0:60 offset1:70
.LBB0_5:
	s_or_b64 exec, exec, s[0:1]
	v_mad_u64_u32 v[53:54], s[0:1], v110, 20, s[10:11]
	s_waitcnt lgkmcnt(0)
	; wave barrier
	s_waitcnt lgkmcnt(0)
	global_load_dwordx4 v[16:19], v[53:54], off offset:280
	global_load_dword v117, v[53:54], off offset:296
	global_load_dwordx4 v[20:23], v[53:54], off offset:600
	ds_read2_b32 v[55:56], v92 offset0:80 offset1:96
	ds_read2_b32 v[58:59], v92 offset0:144 offset1:160
	;; [unrolled: 1-line block ×7, first 2 shown]
	ds_read_b32 v62, v113
	ds_read_b32 v136, v92 offset:1856
	global_load_dword v118, v[53:54], off offset:616
	v_add_u32_e32 v57, 0x200, v92
	v_add_u32_e32 v127, 0x400, v92
	ds_read2_b32 v[75:76], v57 offset0:112 offset1:128
	ds_read2_b32 v[77:78], v127 offset0:48 offset1:64
	;; [unrolled: 1-line block ×3, first 2 shown]
	global_load_dwordx4 v[24:27], v[53:54], off offset:920
	ds_read2_b32 v[128:129], v127 offset0:80 offset1:96
	ds_read2_b32 v[130:131], v127 offset0:16 offset1:32
	;; [unrolled: 1-line block ×4, first 2 shown]
	global_load_dword v119, v[53:54], off offset:936
	global_load_dwordx4 v[28:31], v[53:54], off offset:1240
	global_load_dword v120, v[53:54], off offset:1256
	global_load_dwordx4 v[32:35], v[53:54], off offset:1560
	global_load_dword v121, v[53:54], off offset:1576
	s_waitcnt lgkmcnt(14)
	v_lshrrev_b32_e32 v54, 16, v55
	s_waitcnt lgkmcnt(12)
	v_lshrrev_b32_e32 v140, 16, v67
	s_waitcnt lgkmcnt(6)
	v_lshrrev_b32_e32 v154, 16, v76
	s_waitcnt lgkmcnt(3)
	v_lshrrev_b32_e32 v155, 16, v128
	v_lshrrev_b32_e32 v156, 16, v80
	v_lshrrev_b32_e32 v142, 16, v69
	;; [unrolled: 1-line block ×3, first 2 shown]
	s_waitcnt lgkmcnt(2)
	v_lshrrev_b32_e32 v157, 16, v130
	v_lshrrev_b32_e32 v158, 16, v129
	s_waitcnt lgkmcnt(1)
	v_lshrrev_b32_e32 v159, 16, v132
	v_lshrrev_b32_e32 v145, 16, v70
	v_lshrrev_b32_e32 v146, 16, v73
	v_lshrrev_b32_e32 v160, 16, v131
	s_waitcnt lgkmcnt(0)
	v_lshrrev_b32_e32 v161, 16, v134
	v_lshrrev_b32_e32 v162, 16, v133
	;; [unrolled: 1-line block ×12, first 2 shown]
	s_movk_i32 s1, 0x3aee
	s_mov_b32 s0, 0xbaee
	v_lshrrev_b32_e32 v138, 16, v60
	v_lshrrev_b32_e32 v139, 16, v56
	;; [unrolled: 1-line block ×5, first 2 shown]
	s_mov_b32 s10, 0xbb9c
	s_movk_i32 s11, 0x3a79
	s_mov_b32 s12, 0xb4f2
	s_mov_b32 s13, 0xba79
	s_waitcnt vmcnt(9)
	v_mul_f16_sdwa v165, v54, v16 dst_sel:DWORD dst_unused:UNUSED_PAD src0_sel:DWORD src1_sel:WORD_1
	v_mul_f16_sdwa v166, v55, v16 dst_sel:DWORD dst_unused:UNUSED_PAD src0_sel:DWORD src1_sel:WORD_1
	v_fma_f16 v55, v55, v16, -v165
	s_waitcnt vmcnt(7)
	v_mul_f16_sdwa v165, v140, v21 dst_sel:DWORD dst_unused:UNUSED_PAD src0_sel:DWORD src1_sel:WORD_1
	v_fma_f16 v165, v67, v21, -v165
	v_mul_f16_sdwa v67, v67, v21 dst_sel:DWORD dst_unused:UNUSED_PAD src0_sel:DWORD src1_sel:WORD_1
	v_fma_f16 v67, v140, v21, v67
	v_mul_f16_sdwa v140, v154, v22 dst_sel:DWORD dst_unused:UNUSED_PAD src0_sel:DWORD src1_sel:WORD_1
	v_fma_f16 v140, v76, v22, -v140
	v_mul_f16_sdwa v76, v76, v22 dst_sel:DWORD dst_unused:UNUSED_PAD src0_sel:DWORD src1_sel:WORD_1
	v_fma_f16 v76, v154, v22, v76
	v_mul_f16_sdwa v154, v155, v23 dst_sel:DWORD dst_unused:UNUSED_PAD src0_sel:DWORD src1_sel:WORD_1
	v_fma_f16 v154, v128, v23, -v154
	v_mul_f16_sdwa v128, v128, v23 dst_sel:DWORD dst_unused:UNUSED_PAD src0_sel:DWORD src1_sel:WORD_1
	v_fma_f16 v128, v155, v23, v128
	s_waitcnt vmcnt(6)
	v_mul_f16_sdwa v155, v156, v118 dst_sel:DWORD dst_unused:UNUSED_PAD src0_sel:DWORD src1_sel:WORD_1
	v_fma_f16 v155, v80, v118, -v155
	v_mul_f16_sdwa v80, v80, v118 dst_sel:DWORD dst_unused:UNUSED_PAD src0_sel:DWORD src1_sel:WORD_1
	v_fma_f16 v80, v156, v118, v80
	s_waitcnt vmcnt(5)
	v_mul_f16_sdwa v156, v142, v24 dst_sel:DWORD dst_unused:UNUSED_PAD src0_sel:DWORD src1_sel:WORD_1
	v_fma_f16 v156, v69, v24, -v156
	v_mul_f16_sdwa v69, v69, v24 dst_sel:DWORD dst_unused:UNUSED_PAD src0_sel:DWORD src1_sel:WORD_1
	v_fma_f16 v69, v142, v24, v69
	v_mul_f16_sdwa v142, v143, v25 dst_sel:DWORD dst_unused:UNUSED_PAD src0_sel:DWORD src1_sel:WORD_1
	v_fma_f16 v142, v68, v25, -v142
	v_mul_f16_sdwa v68, v68, v25 dst_sel:DWORD dst_unused:UNUSED_PAD src0_sel:DWORD src1_sel:WORD_1
	v_fma_f16 v68, v143, v25, v68
	v_mul_f16_sdwa v143, v157, v26 dst_sel:DWORD dst_unused:UNUSED_PAD src0_sel:DWORD src1_sel:WORD_1
	v_fma_f16 v143, v130, v26, -v143
	v_mul_f16_sdwa v130, v130, v26 dst_sel:DWORD dst_unused:UNUSED_PAD src0_sel:DWORD src1_sel:WORD_1
	v_fma_f16 v130, v157, v26, v130
	v_mul_f16_sdwa v157, v158, v27 dst_sel:DWORD dst_unused:UNUSED_PAD src0_sel:DWORD src1_sel:WORD_1
	v_fma_f16 v157, v129, v27, -v157
	v_mul_f16_sdwa v129, v129, v27 dst_sel:DWORD dst_unused:UNUSED_PAD src0_sel:DWORD src1_sel:WORD_1
	v_fma_f16 v129, v158, v27, v129
	s_waitcnt vmcnt(4)
	v_mul_f16_sdwa v158, v159, v119 dst_sel:DWORD dst_unused:UNUSED_PAD src0_sel:DWORD src1_sel:WORD_1
	v_fma_f16 v158, v132, v119, -v158
	v_mul_f16_sdwa v132, v132, v119 dst_sel:DWORD dst_unused:UNUSED_PAD src0_sel:DWORD src1_sel:WORD_1
	v_fma_f16 v132, v159, v119, v132
	s_waitcnt vmcnt(3)
	v_mul_f16_sdwa v159, v145, v28 dst_sel:DWORD dst_unused:UNUSED_PAD src0_sel:DWORD src1_sel:WORD_1
	v_fma_f16 v159, v70, v28, -v159
	v_mul_f16_sdwa v70, v70, v28 dst_sel:DWORD dst_unused:UNUSED_PAD src0_sel:DWORD src1_sel:WORD_1
	v_fma_f16 v70, v145, v28, v70
	;; [unrolled: 22-line block ×3, first 2 shown]
	v_mul_f16_sdwa v148, v149, v33 dst_sel:DWORD dst_unused:UNUSED_PAD src0_sel:DWORD src1_sel:WORD_1
	v_fma_f16 v148, v74, v33, -v148
	v_mul_f16_sdwa v74, v74, v33 dst_sel:DWORD dst_unused:UNUSED_PAD src0_sel:DWORD src1_sel:WORD_1
	v_fma_f16 v74, v149, v33, v74
	v_mul_f16_sdwa v149, v163, v34 dst_sel:DWORD dst_unused:UNUSED_PAD src0_sel:DWORD src1_sel:WORD_1
	v_fma_f16 v149, v77, v34, -v149
	v_mul_f16_sdwa v77, v77, v34 dst_sel:DWORD dst_unused:UNUSED_PAD src0_sel:DWORD src1_sel:WORD_1
	v_fma_f16 v77, v163, v34, v77
	v_mul_f16_sdwa v163, v164, v35 dst_sel:DWORD dst_unused:UNUSED_PAD src0_sel:DWORD src1_sel:WORD_1
	v_mul_f16_sdwa v167, v137, v17 dst_sel:DWORD dst_unused:UNUSED_PAD src0_sel:DWORD src1_sel:WORD_1
	;; [unrolled: 1-line block ×3, first 2 shown]
	v_fma_f16 v163, v135, v35, -v163
	v_mul_f16_sdwa v135, v135, v35 dst_sel:DWORD dst_unused:UNUSED_PAD src0_sel:DWORD src1_sel:WORD_1
	v_mul_f16_sdwa v168, v59, v17 dst_sel:DWORD dst_unused:UNUSED_PAD src0_sel:DWORD src1_sel:WORD_1
	v_mul_f16_sdwa v172, v78, v19 dst_sel:DWORD dst_unused:UNUSED_PAD src0_sel:DWORD src1_sel:WORD_1
	v_fma_f16 v59, v59, v17, -v167
	v_fma_f16 v78, v78, v19, -v171
	v_fma_f16 v135, v164, v35, v135
	s_waitcnt vmcnt(0)
	v_mul_f16_sdwa v164, v150, v121 dst_sel:DWORD dst_unused:UNUSED_PAD src0_sel:DWORD src1_sel:WORD_1
	v_fma_f16 v54, v54, v16, v166
	v_fma_f16 v137, v137, v17, v168
	;; [unrolled: 1-line block ×3, first 2 shown]
	v_fma_f16 v164, v136, v121, -v164
	v_mul_f16_sdwa v136, v136, v121 dst_sel:DWORD dst_unused:UNUSED_PAD src0_sel:DWORD src1_sel:WORD_1
	v_add_f16_e32 v166, v59, v78
	v_mul_f16_sdwa v169, v151, v18 dst_sel:DWORD dst_unused:UNUSED_PAD src0_sel:DWORD src1_sel:WORD_1
	v_mul_f16_sdwa v173, v153, v117 dst_sel:DWORD dst_unused:UNUSED_PAD src0_sel:DWORD src1_sel:WORD_1
	v_fma_f16 v136, v150, v121, v136
	v_add_f16_e32 v150, v62, v59
	v_fma_f16 v62, v166, -0.5, v62
	v_sub_f16_e32 v166, v137, v152
	v_mul_f16_sdwa v170, v75, v18 dst_sel:DWORD dst_unused:UNUSED_PAD src0_sel:DWORD src1_sel:WORD_1
	v_mul_f16_sdwa v174, v79, v117 dst_sel:DWORD dst_unused:UNUSED_PAD src0_sel:DWORD src1_sel:WORD_1
	v_fma_f16 v75, v75, v18, -v169
	v_fma_f16 v79, v79, v117, -v173
	v_fma_f16 v167, v166, s1, v62
	v_fma_f16 v62, v166, s0, v62
	v_add_f16_e32 v166, v53, v137
	v_add_f16_e32 v137, v137, v152
	v_fma_f16 v151, v151, v18, v170
	v_fma_f16 v153, v153, v117, v174
	v_fma_f16 v53, v137, -0.5, v53
	v_sub_f16_e32 v59, v59, v78
	v_add_f16_e32 v137, v75, v79
	v_add_f16_e32 v150, v150, v78
	v_fma_f16 v78, v59, s0, v53
	v_fma_f16 v53, v59, s1, v53
	v_add_f16_e32 v59, v55, v75
	v_fma_f16 v55, v137, -0.5, v55
	v_sub_f16_e32 v137, v151, v153
	v_add_f16_e32 v166, v166, v152
	v_fma_f16 v152, v137, s1, v55
	v_fma_f16 v55, v137, s0, v55
	v_add_f16_e32 v137, v54, v151
	v_add_f16_e32 v151, v151, v153
	v_fma_f16 v54, v151, -0.5, v54
	v_sub_f16_e32 v75, v75, v79
	v_add_f16_e32 v59, v59, v79
	v_fma_f16 v79, v75, s0, v54
	v_mul_f16_e32 v151, 0x3aee, v79
	v_fma_f16 v54, v75, s1, v54
	v_fma_f16 v151, v152, 0.5, v151
	v_mul_f16_e32 v168, -0.5, v55
	v_mul_f16_e32 v152, 0xbaee, v152
	v_fma_f16 v168, v54, s1, v168
	v_fma_f16 v79, v79, 0.5, v152
	v_mul_f16_e32 v54, -0.5, v54
	v_add_f16_e32 v152, v78, v79
	v_fma_f16 v54, v55, s0, v54
	v_sub_f16_e32 v78, v78, v79
	v_add_f16_e32 v79, v165, v154
	v_add_f16_e32 v55, v53, v54
	v_sub_f16_e32 v53, v53, v54
	v_add_f16_e32 v54, v60, v165
	v_fma_f16 v60, v79, -0.5, v60
	v_sub_f16_e32 v79, v67, v128
	v_mul_f16_sdwa v175, v139, v20 dst_sel:DWORD dst_unused:UNUSED_PAD src0_sel:DWORD src1_sel:WORD_1
	v_add_f16_e32 v137, v137, v153
	v_add_f16_e32 v75, v150, v59
	;; [unrolled: 1-line block ×3, first 2 shown]
	v_sub_f16_e32 v59, v150, v59
	v_sub_f16_e32 v150, v167, v151
	v_fma_f16 v151, v79, s1, v60
	v_fma_f16 v60, v79, s0, v60
	v_add_f16_e32 v79, v138, v67
	v_add_f16_e32 v67, v67, v128
	v_mul_f16_sdwa v176, v56, v20 dst_sel:DWORD dst_unused:UNUSED_PAD src0_sel:DWORD src1_sel:WORD_1
	v_fma_f16 v56, v56, v20, -v175
	v_add_f16_e32 v54, v54, v154
	v_add_f16_e32 v79, v79, v128
	v_fma_f16 v67, v67, -0.5, v138
	v_sub_f16_e32 v128, v165, v154
	v_add_f16_e32 v154, v140, v155
	v_fma_f16 v139, v139, v20, v176
	v_fma_f16 v138, v128, s0, v67
	;; [unrolled: 1-line block ×3, first 2 shown]
	v_add_f16_e32 v128, v56, v140
	v_fma_f16 v56, v154, -0.5, v56
	v_sub_f16_e32 v154, v76, v80
	v_fma_f16 v165, v154, s1, v56
	v_fma_f16 v56, v154, s0, v56
	v_add_f16_e32 v154, v139, v76
	v_add_f16_e32 v76, v76, v80
	;; [unrolled: 1-line block ×3, first 2 shown]
	v_fma_f16 v76, v76, -0.5, v139
	v_sub_f16_e32 v80, v140, v155
	v_fma_f16 v139, v80, s0, v76
	v_mul_f16_e32 v140, 0x3aee, v139
	v_add_f16_e32 v170, v166, v137
	v_sub_f16_e32 v137, v166, v137
	v_fma_f16 v76, v80, s1, v76
	v_fma_f16 v140, v165, 0.5, v140
	v_mul_f16_e32 v166, -0.5, v56
	v_mul_f16_e32 v165, 0xbaee, v165
	v_fma_f16 v166, v76, s1, v166
	v_fma_f16 v139, v139, 0.5, v165
	v_mul_f16_e32 v76, -0.5, v76
	v_add_f16_e32 v165, v138, v139
	v_fma_f16 v56, v56, s0, v76
	v_sub_f16_e32 v138, v138, v139
	v_add_f16_e32 v139, v142, v157
	v_add_f16_e32 v128, v128, v155
	;; [unrolled: 1-line block ×3, first 2 shown]
	v_sub_f16_e32 v56, v67, v56
	v_add_f16_e32 v67, v61, v142
	v_fma_f16 v61, v139, -0.5, v61
	v_sub_f16_e32 v139, v68, v129
	v_add_f16_e32 v80, v54, v128
	v_add_f16_e32 v155, v151, v140
	v_sub_f16_e32 v54, v54, v128
	v_sub_f16_e32 v128, v151, v140
	v_fma_f16 v140, v139, s1, v61
	v_fma_f16 v61, v139, s0, v61
	v_add_f16_e32 v139, v141, v68
	v_add_f16_e32 v139, v139, v129
	;; [unrolled: 1-line block ×3, first 2 shown]
	v_sub_f16_e32 v129, v142, v157
	v_add_f16_e32 v142, v143, v158
	v_fma_f16 v142, v142, -0.5, v156
	v_sub_f16_e32 v151, v130, v132
	v_add_f16_e32 v169, v62, v168
	v_sub_f16_e32 v62, v62, v168
	v_add_f16_e32 v168, v79, v154
	v_sub_f16_e32 v79, v79, v154
	v_fma_f16 v154, v151, s1, v142
	v_fma_f16 v142, v151, s0, v142
	v_add_f16_e32 v151, v69, v130
	v_add_f16_e32 v130, v130, v132
	v_fma_f16 v69, v130, -0.5, v69
	v_sub_f16_e32 v130, v143, v158
	v_fma_f16 v68, v68, -0.5, v141
	v_add_f16_e32 v151, v151, v132
	v_fma_f16 v132, v130, s0, v69
	v_add_f16_e32 v67, v67, v157
	v_fma_f16 v141, v129, s0, v68
	v_fma_f16 v68, v129, s1, v68
	v_add_f16_e32 v129, v156, v143
	v_fma_f16 v69, v130, s1, v69
	v_mul_f16_e32 v143, 0x3aee, v132
	v_mul_f16_e32 v157, -0.5, v142
	v_add_f16_e32 v129, v129, v158
	v_fma_f16 v143, v154, 0.5, v143
	v_fma_f16 v157, v69, s1, v157
	v_mul_f16_e32 v69, -0.5, v69
	v_add_f16_e32 v130, v67, v129
	v_add_f16_e32 v156, v140, v143
	v_mul_f16_e32 v154, 0xbaee, v154
	v_fma_f16 v69, v142, s0, v69
	v_sub_f16_e32 v67, v67, v129
	v_sub_f16_e32 v129, v140, v143
	v_add_f16_e32 v140, v145, v160
	v_fma_f16 v132, v132, 0.5, v154
	v_add_f16_e32 v142, v68, v69
	v_sub_f16_e32 v68, v68, v69
	v_add_f16_e32 v69, v71, v145
	v_fma_f16 v71, v140, -0.5, v71
	v_sub_f16_e32 v140, v73, v134
	v_add_f16_e32 v154, v141, v132
	v_sub_f16_e32 v132, v141, v132
	v_fma_f16 v141, v140, s1, v71
	v_fma_f16 v71, v140, s0, v71
	v_add_f16_e32 v140, v144, v73
	v_add_f16_e32 v73, v73, v134
	v_fma_f16 v73, v73, -0.5, v144
	v_add_f16_e32 v144, v146, v161
	v_add_f16_e32 v140, v140, v134
	v_sub_f16_e32 v134, v145, v160
	v_fma_f16 v144, v144, -0.5, v159
	v_sub_f16_e32 v145, v131, v133
	v_add_f16_e32 v167, v60, v166
	v_sub_f16_e32 v60, v60, v166
	v_add_f16_e32 v166, v139, v151
	v_sub_f16_e32 v139, v139, v151
	v_fma_f16 v151, v145, s1, v144
	v_fma_f16 v144, v145, s0, v144
	v_add_f16_e32 v145, v70, v131
	v_add_f16_e32 v131, v131, v133
	v_fma_f16 v70, v131, -0.5, v70
	v_sub_f16_e32 v131, v146, v161
	v_add_f16_e32 v145, v145, v133
	v_fma_f16 v133, v131, s0, v70
	v_fma_f16 v143, v134, s0, v73
	;; [unrolled: 1-line block ×3, first 2 shown]
	v_add_f16_e32 v134, v159, v146
	v_fma_f16 v70, v131, s1, v70
	v_mul_f16_e32 v146, 0x3aee, v133
	v_mul_f16_e32 v159, -0.5, v144
	v_add_f16_e32 v69, v69, v160
	v_add_f16_e32 v134, v134, v161
	v_fma_f16 v146, v151, 0.5, v146
	v_fma_f16 v159, v70, s1, v159
	v_mul_f16_e32 v70, -0.5, v70
	v_add_f16_e32 v158, v61, v157
	v_sub_f16_e32 v61, v61, v157
	v_add_f16_e32 v131, v69, v134
	v_add_f16_e32 v157, v141, v146
	v_mul_f16_e32 v151, 0xbaee, v151
	v_fma_f16 v70, v144, s0, v70
	v_sub_f16_e32 v69, v69, v134
	v_sub_f16_e32 v134, v141, v146
	v_add_f16_e32 v141, v148, v163
	v_fma_f16 v133, v133, 0.5, v151
	v_add_f16_e32 v144, v73, v70
	v_sub_f16_e32 v70, v73, v70
	v_add_f16_e32 v73, v72, v148
	v_fma_f16 v72, v141, -0.5, v72
	v_sub_f16_e32 v141, v74, v135
	v_add_f16_e32 v151, v143, v133
	v_sub_f16_e32 v133, v143, v133
	v_fma_f16 v143, v141, s1, v72
	v_fma_f16 v72, v141, s0, v72
	v_add_f16_e32 v141, v147, v74
	v_add_f16_e32 v74, v74, v135
	;; [unrolled: 1-line block ×3, first 2 shown]
	v_fma_f16 v74, v74, -0.5, v147
	v_fma_f16 v146, v146, -0.5, v162
	v_sub_f16_e32 v147, v77, v136
	v_add_f16_e32 v141, v141, v135
	v_sub_f16_e32 v135, v148, v163
	v_fma_f16 v148, v147, s1, v146
	v_fma_f16 v146, v147, s0, v146
	v_add_f16_e32 v147, v58, v77
	v_add_f16_e32 v77, v77, v136
	v_fma_f16 v58, v77, -0.5, v58
	v_sub_f16_e32 v77, v149, v164
	v_add_f16_e32 v161, v140, v145
	v_sub_f16_e32 v140, v140, v145
	v_fma_f16 v145, v135, s0, v74
	v_fma_f16 v74, v135, s1, v74
	v_add_f16_e32 v135, v162, v149
	v_add_f16_e32 v147, v147, v136
	v_fma_f16 v136, v77, s0, v58
	v_fma_f16 v58, v77, s1, v58
	v_mul_f16_e32 v162, -0.5, v146
	v_fma_f16 v162, v58, s1, v162
	v_mul_f16_e32 v58, -0.5, v58
	v_fma_f16 v58, v146, s0, v58
	v_add_f16_e32 v146, v74, v58
	v_sub_f16_e32 v58, v74, v58
	v_pack_b32_f16 v74, v75, v170
	v_pack_b32_f16 v53, v62, v53
	;; [unrolled: 1-line block ×3, first 2 shown]
	ds_write_b32 v113, v74
	v_pack_b32_f16 v74, v153, v152
	v_pack_b32_f16 v75, v150, v78
	;; [unrolled: 1-line block ×4, first 2 shown]
	ds_write2_b32 v127, v53, v56 offset0:144 offset1:160
	v_pack_b32_f16 v53, v130, v166
	v_mul_f16_e32 v149, 0x3aee, v136
	v_pack_b32_f16 v59, v59, v137
	ds_write2_b32 v92, v74, v78 offset0:80 offset1:96
	v_pack_b32_f16 v74, v167, v76
	v_pack_b32_f16 v54, v54, v79
	ds_write2_b32 v92, v62, v53 offset0:16 offset1:32
	v_pack_b32_f16 v53, v156, v154
	v_pack_b32_f16 v56, v158, v142
	;; [unrolled: 1-line block ×3, first 2 shown]
	v_add_f16_e32 v160, v71, v159
	v_sub_f16_e32 v71, v71, v159
	v_add_f16_e32 v73, v73, v163
	v_add_f16_e32 v135, v135, v164
	v_fma_f16 v149, v148, 0.5, v149
	v_mul_f16_e32 v148, 0xbaee, v148
	ds_write2_b32 v57, v59, v54 offset0:112 offset1:128
	v_pack_b32_f16 v54, v128, v138
	ds_write2_b32 v92, v74, v56 offset0:176 offset1:192
	v_pack_b32_f16 v56, v67, v139
	v_pack_b32_f16 v59, v129, v132
	ds_write2_b32 v92, v53, v60 offset0:112 offset1:128
	v_pack_b32_f16 v60, v69, v140
	v_add_f16_e32 v77, v73, v135
	v_add_f16_e32 v164, v141, v147
	v_fma_f16 v136, v136, 0.5, v148
	ds_write2_b32 v127, v54, v59 offset0:80 offset1:96
	v_pack_b32_f16 v54, v61, v68
	ds_write2_b32 v127, v56, v60 offset0:16 offset1:32
	v_pack_b32_f16 v60, v71, v70
	v_add_f16_e32 v159, v143, v149
	v_add_f16_e32 v148, v145, v136
	v_pack_b32_f16 v59, v131, v161
	ds_write2_b32 v127, v54, v60 offset0:176 offset1:192
	v_pack_b32_f16 v54, v77, v164
	v_add_f16_e32 v163, v72, v162
	v_pack_b32_f16 v55, v169, v55
	ds_write2_b32 v92, v59, v54 offset0:48 offset1:64
	v_pack_b32_f16 v54, v159, v148
	v_sub_f16_e32 v73, v73, v135
	v_sub_f16_e32 v141, v141, v147
	v_pack_b32_f16 v53, v160, v144
	ds_write2_b32 v92, v54, v55 offset0:144 offset1:160
	v_pack_b32_f16 v54, v163, v146
	v_sub_f16_e32 v135, v143, v149
	v_sub_f16_e32 v136, v145, v136
	ds_write2_b32 v92, v53, v54 offset0:208 offset1:224
	v_pack_b32_f16 v53, v73, v141
	v_sub_f16_e32 v72, v72, v162
	v_pack_b32_f16 v56, v134, v133
	ds_write2_b32 v127, v53, v75 offset0:48 offset1:64
	v_pack_b32_f16 v53, v135, v136
	ds_write2_b32 v127, v56, v53 offset0:112 offset1:128
	v_pack_b32_f16 v53, v72, v58
	ds_write_b32 v92, v53 offset:1856
	s_waitcnt lgkmcnt(0)
	; wave barrier
	s_waitcnt lgkmcnt(0)
	global_load_dword v51, v[51:52], off offset:1920
	s_add_u32 s0, s8, 0x780
	s_addc_u32 s1, s9, 0
	global_load_dword v55, v63, s[0:1] offset:192
	global_load_dword v58, v63, s[0:1] offset:384
	;; [unrolled: 1-line block ×9, first 2 shown]
	ds_read_b32 v52, v113
	s_movk_i32 s8, 0x34f2
	s_mov_b32 s9, 0xb8b4
	s_waitcnt lgkmcnt(0)
	v_lshrrev_b32_e32 v53, 16, v52
	s_waitcnt vmcnt(9)
	v_mul_f16_sdwa v54, v53, v51 dst_sel:DWORD dst_unused:UNUSED_PAD src0_sel:DWORD src1_sel:WORD_1
	v_fma_f16 v54, v52, v51, -v54
	v_mul_f16_sdwa v52, v52, v51 dst_sel:DWORD dst_unused:UNUSED_PAD src0_sel:DWORD src1_sel:WORD_1
	v_fma_f16 v51, v53, v51, v52
	v_pack_b32_f16 v51, v54, v51
	ds_write_b32 v113, v51
	ds_read2_b32 v[51:52], v92 offset0:48 offset1:64
	global_load_dword v72, v63, s[0:1] offset:64
	global_load_dword v73, v63, s[0:1] offset:256
	;; [unrolled: 1-line block ×6, first 2 shown]
	ds_read2_b32 v[53:54], v92 offset0:80 offset1:96
	s_waitcnt lgkmcnt(1)
	v_lshrrev_b32_e32 v56, 16, v51
	s_waitcnt vmcnt(14)
	v_mul_f16_sdwa v59, v56, v55 dst_sel:DWORD dst_unused:UNUSED_PAD src0_sel:DWORD src1_sel:WORD_1
	v_fma_f16 v59, v51, v55, -v59
	v_mul_f16_sdwa v51, v51, v55 dst_sel:DWORD dst_unused:UNUSED_PAD src0_sel:DWORD src1_sel:WORD_1
	v_fma_f16 v51, v56, v55, v51
	ds_read2_b32 v[55:56], v92 offset0:144 offset1:160
	global_load_dword v79, v63, s[0:1] offset:640
	global_load_dword v80, v63, s[0:1] offset:832
	;; [unrolled: 1-line block ×5, first 2 shown]
	v_pack_b32_f16 v51, v59, v51
	s_waitcnt lgkmcnt(1)
	v_lshrrev_b32_e32 v59, 16, v54
	s_waitcnt vmcnt(18)
	v_mul_f16_sdwa v68, v59, v58 dst_sel:DWORD dst_unused:UNUSED_PAD src0_sel:DWORD src1_sel:WORD_1
	v_fma_f16 v68, v54, v58, -v68
	v_mul_f16_sdwa v54, v54, v58 dst_sel:DWORD dst_unused:UNUSED_PAD src0_sel:DWORD src1_sel:WORD_1
	v_fma_f16 v54, v59, v58, v54
	v_pack_b32_f16 v78, v68, v54
	s_waitcnt lgkmcnt(0)
	v_lshrrev_b32_e32 v54, 16, v55
	s_waitcnt vmcnt(17)
	v_mul_f16_sdwa v68, v54, v60 dst_sel:DWORD dst_unused:UNUSED_PAD src0_sel:DWORD src1_sel:WORD_1
	ds_read2_b32 v[58:59], v92 offset0:176 offset1:192
	v_fma_f16 v68, v55, v60, -v68
	v_mul_f16_sdwa v55, v55, v60 dst_sel:DWORD dst_unused:UNUSED_PAD src0_sel:DWORD src1_sel:WORD_1
	v_fma_f16 v54, v54, v60, v55
	v_pack_b32_f16 v131, v68, v54
	ds_read2_b32 v[54:55], v57 offset0:112 offset1:128
	s_waitcnt lgkmcnt(1)
	v_lshrrev_b32_e32 v60, 16, v59
	global_load_dword v133, v63, s[0:1] offset:1216
	s_waitcnt vmcnt(17)
	v_mul_f16_sdwa v68, v60, v61 dst_sel:DWORD dst_unused:UNUSED_PAD src0_sel:DWORD src1_sel:WORD_1
	v_fma_f16 v68, v59, v61, -v68
	v_mul_f16_sdwa v59, v59, v61 dst_sel:DWORD dst_unused:UNUSED_PAD src0_sel:DWORD src1_sel:WORD_1
	v_fma_f16 v59, v60, v61, v59
	s_waitcnt lgkmcnt(0)
	v_lshrrev_b32_e32 v61, 16, v54
	v_pack_b32_f16 v132, v68, v59
	s_waitcnt vmcnt(16)
	v_mul_f16_sdwa v59, v61, v62 dst_sel:DWORD dst_unused:UNUSED_PAD src0_sel:DWORD src1_sel:WORD_1
	v_fma_f16 v68, v54, v62, -v59
	ds_read2_b32 v[59:60], v127 offset0:16 offset1:32
	global_load_dword v134, v63, s[0:1] offset:1408
	global_load_dword v135, v63, s[0:1] offset:1472
	global_load_dword v136, v63, s[0:1] offset:1280
	global_load_dword v137, v63, s[0:1] offset:1088
	global_load_dword v139, v63, s[0:1] offset:1600
	global_load_dword v141, v63, s[0:1] offset:1792
	v_mul_f16_sdwa v54, v54, v62 dst_sel:DWORD dst_unused:UNUSED_PAD src0_sel:DWORD src1_sel:WORD_1
	v_fma_f16 v54, v61, v62, v54
	ds_read2_b32 v[61:62], v127 offset0:80 offset1:96
	v_pack_b32_f16 v54, v68, v54
	s_waitcnt lgkmcnt(1)
	v_lshrrev_b32_e32 v68, 16, v60
	s_waitcnt vmcnt(21)
	v_mul_f16_sdwa v138, v68, v67 dst_sel:DWORD dst_unused:UNUSED_PAD src0_sel:DWORD src1_sel:WORD_1
	v_fma_f16 v138, v60, v67, -v138
	v_mul_f16_sdwa v60, v60, v67 dst_sel:DWORD dst_unused:UNUSED_PAD src0_sel:DWORD src1_sel:WORD_1
	v_fma_f16 v60, v68, v67, v60
	v_pack_b32_f16 v138, v138, v60
	s_waitcnt lgkmcnt(0)
	v_lshrrev_b32_e32 v60, 16, v61
	s_waitcnt vmcnt(20)
	v_mul_f16_sdwa v67, v60, v69 dst_sel:DWORD dst_unused:UNUSED_PAD src0_sel:DWORD src1_sel:WORD_1
	v_fma_f16 v140, v61, v69, -v67
	ds_read2_b32 v[67:68], v127 offset0:112 offset1:128
	v_mul_f16_sdwa v61, v61, v69 dst_sel:DWORD dst_unused:UNUSED_PAD src0_sel:DWORD src1_sel:WORD_1
	v_fma_f16 v60, v60, v69, v61
	v_pack_b32_f16 v140, v140, v60
	ds_read2_b32 v[60:61], v127 offset0:176 offset1:192
	s_waitcnt lgkmcnt(1)
	v_lshrrev_b32_e32 v69, 16, v68
	s_waitcnt vmcnt(19)
	v_mul_f16_sdwa v142, v69, v70 dst_sel:DWORD dst_unused:UNUSED_PAD src0_sel:DWORD src1_sel:WORD_1
	v_fma_f16 v142, v68, v70, -v142
	v_mul_f16_sdwa v68, v68, v70 dst_sel:DWORD dst_unused:UNUSED_PAD src0_sel:DWORD src1_sel:WORD_1
	v_fma_f16 v68, v69, v70, v68
	v_pack_b32_f16 v142, v142, v68
	global_load_dword v143, v63, s[0:1] offset:1856
	s_nop 0
	global_load_dword v63, v63, s[0:1] offset:1664
	ds_read2_b32 v[68:69], v92 offset0:16 offset1:32
	s_waitcnt lgkmcnt(1)
	v_lshrrev_b32_e32 v70, 16, v60
	s_waitcnt vmcnt(20)
	v_mul_f16_sdwa v144, v70, v71 dst_sel:DWORD dst_unused:UNUSED_PAD src0_sel:DWORD src1_sel:WORD_1
	v_fma_f16 v144, v60, v71, -v144
	v_mul_f16_sdwa v60, v60, v71 dst_sel:DWORD dst_unused:UNUSED_PAD src0_sel:DWORD src1_sel:WORD_1
	v_fma_f16 v60, v70, v71, v60
	s_waitcnt lgkmcnt(0)
	v_lshrrev_b32_e32 v70, 16, v68
	v_pack_b32_f16 v60, v144, v60
	s_movk_i32 s1, 0x3b9c
	s_movk_i32 s0, 0x38b4
	s_waitcnt vmcnt(19)
	v_mul_f16_sdwa v71, v70, v72 dst_sel:DWORD dst_unused:UNUSED_PAD src0_sel:DWORD src1_sel:WORD_1
	v_fma_f16 v71, v68, v72, -v71
	v_mul_f16_sdwa v68, v68, v72 dst_sel:DWORD dst_unused:UNUSED_PAD src0_sel:DWORD src1_sel:WORD_1
	v_fma_f16 v68, v70, v72, v68
	v_lshrrev_b32_e32 v72, 16, v52
	s_waitcnt vmcnt(18)
	v_mul_f16_sdwa v70, v72, v73 dst_sel:DWORD dst_unused:UNUSED_PAD src0_sel:DWORD src1_sel:WORD_1
	v_pack_b32_f16 v68, v71, v68
	v_fma_f16 v144, v52, v73, -v70
	ds_read2_b32 v[70:71], v92 offset0:112 offset1:128
	v_mul_f16_sdwa v52, v52, v73 dst_sel:DWORD dst_unused:UNUSED_PAD src0_sel:DWORD src1_sel:WORD_1
	v_fma_f16 v52, v72, v73, v52
	v_pack_b32_f16 v52, v144, v52
	ds_write2_b32 v92, v51, v52 offset0:48 offset1:64
	s_waitcnt lgkmcnt(1)
	v_lshrrev_b32_e32 v51, 16, v70
	s_waitcnt vmcnt(17)
	v_mul_f16_sdwa v52, v51, v74 dst_sel:DWORD dst_unused:UNUSED_PAD src0_sel:DWORD src1_sel:WORD_1
	v_fma_f16 v52, v70, v74, -v52
	v_mul_f16_sdwa v70, v70, v74 dst_sel:DWORD dst_unused:UNUSED_PAD src0_sel:DWORD src1_sel:WORD_1
	v_fma_f16 v51, v51, v74, v70
	v_lshrrev_b32_e32 v72, 16, v56
	v_pack_b32_f16 v70, v52, v51
	s_waitcnt vmcnt(13)
	v_mul_f16_sdwa v51, v72, v79 dst_sel:DWORD dst_unused:UNUSED_PAD src0_sel:DWORD src1_sel:WORD_1
	v_fma_f16 v73, v56, v79, -v51
	ds_read2_b32 v[51:52], v92 offset0:208 offset1:224
	v_mul_f16_sdwa v56, v56, v79 dst_sel:DWORD dst_unused:UNUSED_PAD src0_sel:DWORD src1_sel:WORD_1
	v_fma_f16 v56, v72, v79, v56
	v_pack_b32_f16 v56, v73, v56
	ds_write2_b32 v92, v131, v56 offset0:144 offset1:160
	s_waitcnt lgkmcnt(1)
	v_lshrrev_b32_e32 v56, 16, v51
	s_waitcnt vmcnt(12)
	v_mul_f16_sdwa v72, v56, v80 dst_sel:DWORD dst_unused:UNUSED_PAD src0_sel:DWORD src1_sel:WORD_1
	v_fma_f16 v72, v51, v80, -v72
	v_mul_f16_sdwa v51, v51, v80 dst_sel:DWORD dst_unused:UNUSED_PAD src0_sel:DWORD src1_sel:WORD_1
	v_fma_f16 v51, v56, v80, v51
	v_lshrrev_b32_e32 v56, 16, v55
	v_pack_b32_f16 v51, v72, v51
	s_waitcnt vmcnt(11)
	v_mul_f16_sdwa v72, v56, v128 dst_sel:DWORD dst_unused:UNUSED_PAD src0_sel:DWORD src1_sel:WORD_1
	v_fma_f16 v74, v55, v128, -v72
	ds_read2_b32 v[72:73], v127 offset0:48 offset1:64
	v_mul_f16_sdwa v55, v55, v128 dst_sel:DWORD dst_unused:UNUSED_PAD src0_sel:DWORD src1_sel:WORD_1
	v_fma_f16 v55, v56, v128, v55
	v_pack_b32_f16 v55, v74, v55
	ds_write2_b32 v57, v54, v55 offset0:112 offset1:128
	s_waitcnt lgkmcnt(1)
	v_lshrrev_b32_e32 v54, 16, v72
	s_waitcnt vmcnt(8)
	v_mul_f16_sdwa v55, v54, v133 dst_sel:DWORD dst_unused:UNUSED_PAD src0_sel:DWORD src1_sel:WORD_1
	v_mul_f16_sdwa v56, v72, v133 dst_sel:DWORD dst_unused:UNUSED_PAD src0_sel:DWORD src1_sel:WORD_1
	v_fma_f16 v55, v72, v133, -v55
	v_fma_f16 v54, v54, v133, v56
	v_lshrrev_b32_e32 v72, 16, v62
	v_pack_b32_f16 v56, v55, v54
	s_waitcnt vmcnt(7)
	v_mul_f16_sdwa v54, v72, v134 dst_sel:DWORD dst_unused:UNUSED_PAD src0_sel:DWORD src1_sel:WORD_1
	v_fma_f16 v74, v62, v134, -v54
	ds_read2_b32 v[54:55], v127 offset0:144 offset1:160
	v_mul_f16_sdwa v62, v62, v134 dst_sel:DWORD dst_unused:UNUSED_PAD src0_sel:DWORD src1_sel:WORD_1
	v_fma_f16 v62, v72, v134, v62
	v_pack_b32_f16 v62, v74, v62
	ds_write2_b32 v127, v140, v62 offset0:80 offset1:96
	s_waitcnt lgkmcnt(1)
	v_lshrrev_b32_e32 v62, 16, v54
	s_waitcnt vmcnt(3)
	v_mul_f16_sdwa v72, v62, v139 dst_sel:DWORD dst_unused:UNUSED_PAD src0_sel:DWORD src1_sel:WORD_1
	v_fma_f16 v72, v54, v139, -v72
	v_mul_f16_sdwa v54, v54, v139 dst_sel:DWORD dst_unused:UNUSED_PAD src0_sel:DWORD src1_sel:WORD_1
	v_fma_f16 v54, v62, v139, v54
	v_lshrrev_b32_e32 v62, 16, v61
	v_pack_b32_f16 v54, v72, v54
	s_waitcnt vmcnt(2)
	v_mul_f16_sdwa v72, v62, v141 dst_sel:DWORD dst_unused:UNUSED_PAD src0_sel:DWORD src1_sel:WORD_1
	v_fma_f16 v72, v61, v141, -v72
	v_mul_f16_sdwa v61, v61, v141 dst_sel:DWORD dst_unused:UNUSED_PAD src0_sel:DWORD src1_sel:WORD_1
	v_fma_f16 v61, v62, v141, v61
	v_pack_b32_f16 v61, v72, v61
	ds_write2_b32 v127, v60, v61 offset0:176 offset1:192
	v_lshrrev_b32_e32 v60, 16, v69
	v_mul_f16_sdwa v61, v60, v77 dst_sel:DWORD dst_unused:UNUSED_PAD src0_sel:DWORD src1_sel:WORD_1
	v_mul_f16_sdwa v62, v69, v77 dst_sel:DWORD dst_unused:UNUSED_PAD src0_sel:DWORD src1_sel:WORD_1
	v_fma_f16 v61, v69, v77, -v61
	v_fma_f16 v60, v60, v77, v62
	v_pack_b32_f16 v60, v61, v60
	ds_write2_b32 v92, v68, v60 offset0:16 offset1:32
	v_lshrrev_b32_e32 v60, 16, v53
	v_mul_f16_sdwa v61, v60, v76 dst_sel:DWORD dst_unused:UNUSED_PAD src0_sel:DWORD src1_sel:WORD_1
	v_fma_f16 v61, v53, v76, -v61
	v_mul_f16_sdwa v53, v53, v76 dst_sel:DWORD dst_unused:UNUSED_PAD src0_sel:DWORD src1_sel:WORD_1
	v_fma_f16 v53, v60, v76, v53
	v_pack_b32_f16 v53, v61, v53
	ds_write2_b32 v92, v53, v78 offset0:80 offset1:96
	v_lshrrev_b32_e32 v53, 16, v71
	v_mul_f16_sdwa v60, v53, v75 dst_sel:DWORD dst_unused:UNUSED_PAD src0_sel:DWORD src1_sel:WORD_1
	v_mul_f16_sdwa v61, v71, v75 dst_sel:DWORD dst_unused:UNUSED_PAD src0_sel:DWORD src1_sel:WORD_1
	v_fma_f16 v60, v71, v75, -v60
	v_fma_f16 v53, v53, v75, v61
	v_pack_b32_f16 v53, v60, v53
	ds_write2_b32 v92, v70, v53 offset0:112 offset1:128
	v_lshrrev_b32_e32 v53, 16, v58
	v_mul_f16_sdwa v60, v53, v130 dst_sel:DWORD dst_unused:UNUSED_PAD src0_sel:DWORD src1_sel:WORD_1
	v_fma_f16 v60, v58, v130, -v60
	v_mul_f16_sdwa v58, v58, v130 dst_sel:DWORD dst_unused:UNUSED_PAD src0_sel:DWORD src1_sel:WORD_1
	v_fma_f16 v53, v53, v130, v58
	v_pack_b32_f16 v53, v60, v53
	ds_write2_b32 v92, v53, v132 offset0:176 offset1:192
	v_lshrrev_b32_e32 v53, 16, v52
	v_mul_f16_sdwa v58, v53, v129 dst_sel:DWORD dst_unused:UNUSED_PAD src0_sel:DWORD src1_sel:WORD_1
	v_fma_f16 v58, v52, v129, -v58
	v_mul_f16_sdwa v52, v52, v129 dst_sel:DWORD dst_unused:UNUSED_PAD src0_sel:DWORD src1_sel:WORD_1
	v_fma_f16 v52, v53, v129, v52
	v_pack_b32_f16 v52, v58, v52
	ds_write2_b32 v92, v51, v52 offset0:208 offset1:224
	v_lshrrev_b32_e32 v51, 16, v59
	v_mul_f16_sdwa v52, v51, v137 dst_sel:DWORD dst_unused:UNUSED_PAD src0_sel:DWORD src1_sel:WORD_1
	v_mul_f16_sdwa v53, v59, v137 dst_sel:DWORD dst_unused:UNUSED_PAD src0_sel:DWORD src1_sel:WORD_1
	v_fma_f16 v52, v59, v137, -v52
	v_fma_f16 v51, v51, v137, v53
	v_pack_b32_f16 v51, v52, v51
	ds_write2_b32 v127, v51, v138 offset0:16 offset1:32
	v_lshrrev_b32_e32 v51, 16, v73
	v_mul_f16_sdwa v52, v51, v136 dst_sel:DWORD dst_unused:UNUSED_PAD src0_sel:DWORD src1_sel:WORD_1
	v_mul_f16_sdwa v53, v73, v136 dst_sel:DWORD dst_unused:UNUSED_PAD src0_sel:DWORD src1_sel:WORD_1
	v_fma_f16 v52, v73, v136, -v52
	;; [unrolled: 7-line block ×3, first 2 shown]
	v_fma_f16 v51, v51, v135, v53
	v_pack_b32_f16 v51, v52, v51
	ds_write2_b32 v127, v51, v142 offset0:112 offset1:128
	v_lshrrev_b32_e32 v51, 16, v55
	ds_read_b32 v53, v92 offset:1856
	s_waitcnt vmcnt(0)
	v_mul_f16_sdwa v52, v51, v63 dst_sel:DWORD dst_unused:UNUSED_PAD src0_sel:DWORD src1_sel:WORD_1
	v_fma_f16 v52, v55, v63, -v52
	v_mul_f16_sdwa v55, v55, v63 dst_sel:DWORD dst_unused:UNUSED_PAD src0_sel:DWORD src1_sel:WORD_1
	v_fma_f16 v51, v51, v63, v55
	v_pack_b32_f16 v51, v52, v51
	ds_write2_b32 v127, v54, v51 offset0:144 offset1:160
	s_waitcnt lgkmcnt(1)
	v_lshrrev_b32_e32 v51, 16, v53
	v_mul_f16_sdwa v52, v51, v143 dst_sel:DWORD dst_unused:UNUSED_PAD src0_sel:DWORD src1_sel:WORD_1
	v_fma_f16 v52, v53, v143, -v52
	v_mul_f16_sdwa v53, v53, v143 dst_sel:DWORD dst_unused:UNUSED_PAD src0_sel:DWORD src1_sel:WORD_1
	v_fma_f16 v51, v51, v143, v53
	v_pack_b32_f16 v51, v52, v51
	ds_write_b32 v92, v51 offset:1856
	s_waitcnt lgkmcnt(0)
	; wave barrier
	s_waitcnt lgkmcnt(0)
	ds_read2_b32 v[59:60], v92 offset0:16 offset1:32
	ds_read2_b32 v[61:62], v92 offset0:80 offset1:96
	;; [unrolled: 1-line block ×9, first 2 shown]
	s_waitcnt lgkmcnt(4)
	v_add_f16_e32 v51, v70, v72
	v_fma_f16 v51, v51, -0.5, v60
	s_waitcnt lgkmcnt(2)
	v_sub_f16_sdwa v52, v68, v76 dst_sel:DWORD dst_unused:UNUSED_PAD src0_sel:WORD_1 src1_sel:WORD_1
	v_fma_f16 v53, v52, s10, v51
	v_sub_f16_sdwa v54, v70, v72 dst_sel:DWORD dst_unused:UNUSED_PAD src0_sel:WORD_1 src1_sel:WORD_1
	v_sub_f16_e32 v55, v76, v72
	v_sub_f16_e32 v56, v68, v70
	v_fma_f16 v51, v52, s1, v51
	v_add_f16_e32 v55, v56, v55
	v_fma_f16 v51, v54, s0, v51
	v_fma_f16 v56, v55, s8, v51
	v_add_f16_e32 v51, v68, v76
	v_fma_f16 v53, v54, s9, v53
	v_fma_f16 v51, v51, -0.5, v60
	v_fma_f16 v53, v55, s8, v53
	v_fma_f16 v55, v54, s1, v51
	v_sub_f16_e32 v58, v72, v76
	v_sub_f16_e32 v63, v70, v68
	v_fma_f16 v51, v54, s10, v51
	v_fma_f16 v55, v52, s9, v55
	v_add_f16_e32 v58, v63, v58
	v_fma_f16 v51, v52, s0, v51
	v_fma_f16 v55, v58, s8, v55
	;; [unrolled: 1-line block ×3, first 2 shown]
	v_pk_add_f16 v51, v60, v68
	v_pk_add_f16 v51, v51, v70
	;; [unrolled: 1-line block ×4, first 2 shown]
	v_add_f16_sdwa v51, v70, v72 dst_sel:DWORD dst_unused:UNUSED_PAD src0_sel:WORD_1 src1_sel:WORD_1
	v_lshrrev_b32_e32 v54, 16, v60
	v_fma_f16 v51, v51, -0.5, v54
	v_sub_f16_e32 v60, v68, v76
	v_fma_f16 v63, v60, s1, v51
	v_sub_f16_e32 v128, v70, v72
	v_sub_f16_sdwa v129, v68, v70 dst_sel:DWORD dst_unused:UNUSED_PAD src0_sel:WORD_1 src1_sel:WORD_1
	v_sub_f16_sdwa v130, v76, v72 dst_sel:DWORD dst_unused:UNUSED_PAD src0_sel:WORD_1 src1_sel:WORD_1
	v_fma_f16 v51, v60, s10, v51
	v_add_f16_e32 v129, v129, v130
	v_fma_f16 v51, v128, s9, v51
	v_fma_f16 v131, v129, s8, v51
	v_add_f16_sdwa v51, v68, v76 dst_sel:DWORD dst_unused:UNUSED_PAD src0_sel:WORD_1 src1_sel:WORD_1
	v_fma_f16 v51, v51, -0.5, v54
	v_fma_f16 v54, v128, s10, v51
	v_sub_f16_sdwa v68, v70, v68 dst_sel:DWORD dst_unused:UNUSED_PAD src0_sel:WORD_1 src1_sel:WORD_1
	v_sub_f16_sdwa v70, v72, v76 dst_sel:DWORD dst_unused:UNUSED_PAD src0_sel:WORD_1 src1_sel:WORD_1
	v_fma_f16 v54, v60, s0, v54
	v_add_f16_e32 v68, v68, v70
	v_fma_f16 v70, v68, s8, v54
	ds_read_b32 v54, v92 offset:1856
	v_fma_f16 v51, v128, s1, v51
	v_fma_f16 v51, v60, s9, v51
	;; [unrolled: 1-line block ×3, first 2 shown]
	ds_read_b32 v68, v113
	s_waitcnt lgkmcnt(2)
	v_add_f16_e32 v51, v77, v79
	v_fma_f16 v63, v128, s0, v63
	v_fma_f16 v51, v51, -0.5, v61
	s_waitcnt lgkmcnt(1)
	v_sub_f16_sdwa v72, v73, v54 dst_sel:DWORD dst_unused:UNUSED_PAD src0_sel:WORD_1 src1_sel:WORD_1
	v_fma_f16 v63, v129, s8, v63
	v_fma_f16 v76, v72, s10, v51
	v_sub_f16_sdwa v128, v77, v79 dst_sel:DWORD dst_unused:UNUSED_PAD src0_sel:WORD_1 src1_sel:WORD_1
	v_sub_f16_e32 v129, v54, v79
	v_sub_f16_e32 v130, v73, v77
	v_fma_f16 v51, v72, s1, v51
	v_fma_f16 v76, v128, s9, v76
	v_add_f16_e32 v129, v130, v129
	v_fma_f16 v51, v128, s0, v51
	v_fma_f16 v76, v129, s8, v76
	;; [unrolled: 1-line block ×3, first 2 shown]
	v_add_f16_e32 v51, v73, v54
	v_fma_f16 v51, v51, -0.5, v61
	v_fma_f16 v130, v128, s1, v51
	v_sub_f16_e32 v132, v79, v54
	v_sub_f16_e32 v133, v77, v73
	v_fma_f16 v51, v128, s10, v51
	v_add_f16_e32 v132, v133, v132
	v_fma_f16 v51, v72, s0, v51
	v_fma_f16 v130, v72, s9, v130
	;; [unrolled: 1-line block ×3, first 2 shown]
	v_pk_add_f16 v51, v61, v73
	v_pk_add_f16 v51, v51, v77
	;; [unrolled: 1-line block ×4, first 2 shown]
	v_add_f16_sdwa v51, v77, v79 dst_sel:DWORD dst_unused:UNUSED_PAD src0_sel:WORD_1 src1_sel:WORD_1
	v_lshrrev_b32_e32 v61, 16, v61
	v_fma_f16 v51, v51, -0.5, v61
	v_sub_f16_e32 v128, v73, v54
	v_fma_f16 v130, v132, s8, v130
	v_fma_f16 v132, v128, s1, v51
	v_sub_f16_e32 v133, v77, v79
	v_sub_f16_sdwa v134, v73, v77 dst_sel:DWORD dst_unused:UNUSED_PAD src0_sel:WORD_1 src1_sel:WORD_1
	v_sub_f16_sdwa v135, v54, v79 dst_sel:DWORD dst_unused:UNUSED_PAD src0_sel:WORD_1 src1_sel:WORD_1
	v_fma_f16 v51, v128, s10, v51
	v_fma_f16 v132, v133, s0, v132
	v_add_f16_e32 v134, v134, v135
	v_fma_f16 v51, v133, s9, v51
	v_fma_f16 v132, v134, s8, v132
	;; [unrolled: 1-line block ×3, first 2 shown]
	v_add_f16_sdwa v51, v73, v54 dst_sel:DWORD dst_unused:UNUSED_PAD src0_sel:WORD_1 src1_sel:WORD_1
	v_fma_f16 v51, v51, -0.5, v61
	v_fma_f16 v61, v133, s10, v51
	v_sub_f16_sdwa v73, v77, v73 dst_sel:DWORD dst_unused:UNUSED_PAD src0_sel:WORD_1 src1_sel:WORD_1
	v_sub_f16_sdwa v54, v79, v54 dst_sel:DWORD dst_unused:UNUSED_PAD src0_sel:WORD_1 src1_sel:WORD_1
	v_fma_f16 v51, v133, s1, v51
	v_fma_f16 v61, v128, s0, v61
	v_add_f16_e32 v54, v73, v54
	v_fma_f16 v51, v128, s9, v51
	v_fma_f16 v61, v54, s8, v61
	;; [unrolled: 1-line block ×3, first 2 shown]
	v_mul_f16_e32 v51, 0xb8b4, v132
	v_fma_f16 v73, v76, s11, v51
	v_mul_f16_e32 v51, 0xbb9c, v61
	v_fma_f16 v77, v130, s8, v51
	v_mul_f16_e32 v51, 0xbb9c, v54
	v_mul_f16_e32 v54, 0xb4f2, v54
	v_fma_f16 v133, v72, s12, v51
	v_mul_f16_e32 v51, 0xb8b4, v134
	v_mul_f16_e32 v76, 0x38b4, v76
	;; [unrolled: 1-line block ×3, first 2 shown]
	v_fma_f16 v72, v72, s1, v54
	v_mul_f16_e32 v54, 0xba79, v134
	v_fma_f16 v135, v129, s13, v51
	v_fma_f16 v76, v132, s11, v76
	;; [unrolled: 1-line block ×4, first 2 shown]
	v_add_f16_e32 v79, v53, v73
	v_add_f16_e32 v138, v55, v77
	;; [unrolled: 1-line block ×8, first 2 shown]
	v_sub_f16_e32 v53, v53, v73
	v_sub_f16_e32 v54, v55, v77
	;; [unrolled: 1-line block ×8, first 2 shown]
	ds_read2_b32 v[60:61], v92 offset0:48 offset1:64
	ds_read2_b32 v[72:73], v92 offset0:144 offset1:160
	;; [unrolled: 1-line block ×5, first 2 shown]
	v_add_f16_e32 v57, v74, v78
	s_waitcnt lgkmcnt(5)
	v_fma_f16 v57, v57, -0.5, v68
	v_sub_f16_sdwa v63, v62, v80 dst_sel:DWORD dst_unused:UNUSED_PAD src0_sel:WORD_1 src1_sel:WORD_1
	v_fma_f16 v70, v63, s10, v57
	v_sub_f16_sdwa v143, v74, v78 dst_sel:DWORD dst_unused:UNUSED_PAD src0_sel:WORD_1 src1_sel:WORD_1
	v_sub_f16_e32 v144, v80, v78
	v_sub_f16_e32 v145, v62, v74
	v_fma_f16 v57, v63, s1, v57
	v_fma_f16 v70, v143, s9, v70
	v_add_f16_e32 v144, v145, v144
	v_fma_f16 v57, v143, s0, v57
	v_fma_f16 v70, v144, s8, v70
	;; [unrolled: 1-line block ×3, first 2 shown]
	v_add_f16_e32 v144, v62, v80
	v_fma_f16 v144, v144, -0.5, v68
	v_fma_f16 v145, v143, s1, v144
	v_sub_f16_e32 v146, v78, v80
	v_sub_f16_e32 v147, v74, v62
	v_fma_f16 v143, v143, s10, v144
	v_fma_f16 v145, v63, s9, v145
	v_add_f16_e32 v146, v147, v146
	v_fma_f16 v63, v63, s0, v143
	v_pk_add_f16 v143, v68, v62
	v_add_f16_sdwa v144, v74, v78 dst_sel:DWORD dst_unused:UNUSED_PAD src0_sel:WORD_1 src1_sel:WORD_1
	v_lshrrev_b32_e32 v68, 16, v68
	v_fma_f16 v145, v146, s8, v145
	v_fma_f16 v63, v146, s8, v63
	v_fma_f16 v144, v144, -0.5, v68
	v_sub_f16_e32 v146, v62, v80
	v_fma_f16 v147, v146, s1, v144
	v_sub_f16_e32 v148, v74, v78
	v_sub_f16_sdwa v149, v62, v74 dst_sel:DWORD dst_unused:UNUSED_PAD src0_sel:WORD_1 src1_sel:WORD_1
	v_sub_f16_sdwa v150, v80, v78 dst_sel:DWORD dst_unused:UNUSED_PAD src0_sel:WORD_1 src1_sel:WORD_1
	v_fma_f16 v144, v146, s10, v144
	v_fma_f16 v147, v148, s0, v147
	v_add_f16_e32 v149, v149, v150
	v_fma_f16 v144, v148, s9, v144
	v_fma_f16 v147, v149, s8, v147
	;; [unrolled: 1-line block ×3, first 2 shown]
	v_add_f16_sdwa v149, v62, v80 dst_sel:DWORD dst_unused:UNUSED_PAD src0_sel:WORD_1 src1_sel:WORD_1
	v_fma_f16 v68, v149, -0.5, v68
	v_pk_add_f16 v143, v143, v74
	v_fma_f16 v149, v148, s10, v68
	v_sub_f16_sdwa v62, v74, v62 dst_sel:DWORD dst_unused:UNUSED_PAD src0_sel:WORD_1 src1_sel:WORD_1
	v_sub_f16_sdwa v74, v78, v80 dst_sel:DWORD dst_unused:UNUSED_PAD src0_sel:WORD_1 src1_sel:WORD_1
	v_fma_f16 v68, v148, s1, v68
	v_fma_f16 v149, v146, s0, v149
	v_add_f16_e32 v62, v62, v74
	v_fma_f16 v68, v146, s9, v68
	v_fma_f16 v74, v62, s8, v149
	v_fma_f16 v62, v62, s8, v68
	s_waitcnt lgkmcnt(1)
	v_add_f16_e32 v68, v76, v133
	v_pk_add_f16 v143, v143, v78
	v_fma_f16 v68, v68, -0.5, v60
	s_waitcnt lgkmcnt(0)
	v_sub_f16_sdwa v78, v72, v135 dst_sel:DWORD dst_unused:UNUSED_PAD src0_sel:WORD_1 src1_sel:WORD_1
	v_pk_add_f16 v143, v143, v80
	v_fma_f16 v80, v78, s10, v68
	v_sub_f16_sdwa v146, v76, v133 dst_sel:DWORD dst_unused:UNUSED_PAD src0_sel:WORD_1 src1_sel:WORD_1
	v_sub_f16_e32 v148, v135, v133
	v_sub_f16_e32 v149, v72, v76
	v_fma_f16 v68, v78, s1, v68
	v_fma_f16 v80, v146, s9, v80
	v_add_f16_e32 v148, v149, v148
	v_fma_f16 v68, v146, s0, v68
	v_fma_f16 v80, v148, s8, v80
	;; [unrolled: 1-line block ×3, first 2 shown]
	v_add_f16_e32 v148, v72, v135
	v_fma_f16 v148, v148, -0.5, v60
	v_fma_f16 v149, v146, s1, v148
	v_sub_f16_e32 v150, v133, v135
	v_sub_f16_e32 v151, v76, v72
	v_fma_f16 v146, v146, s10, v148
	v_fma_f16 v149, v78, s9, v149
	v_add_f16_e32 v150, v151, v150
	v_fma_f16 v78, v78, s0, v146
	v_pk_add_f16 v146, v60, v72
	v_add_f16_sdwa v148, v76, v133 dst_sel:DWORD dst_unused:UNUSED_PAD src0_sel:WORD_1 src1_sel:WORD_1
	v_lshrrev_b32_e32 v60, 16, v60
	v_fma_f16 v149, v150, s8, v149
	v_fma_f16 v78, v150, s8, v78
	v_fma_f16 v148, v148, -0.5, v60
	v_sub_f16_e32 v150, v72, v135
	v_fma_f16 v151, v150, s1, v148
	v_sub_f16_e32 v152, v76, v133
	v_sub_f16_sdwa v153, v72, v76 dst_sel:DWORD dst_unused:UNUSED_PAD src0_sel:WORD_1 src1_sel:WORD_1
	v_sub_f16_sdwa v154, v135, v133 dst_sel:DWORD dst_unused:UNUSED_PAD src0_sel:WORD_1 src1_sel:WORD_1
	v_fma_f16 v148, v150, s10, v148
	v_fma_f16 v151, v152, s0, v151
	v_add_f16_e32 v153, v153, v154
	v_fma_f16 v148, v152, s9, v148
	v_fma_f16 v151, v153, s8, v151
	;; [unrolled: 1-line block ×3, first 2 shown]
	v_add_f16_sdwa v153, v72, v135 dst_sel:DWORD dst_unused:UNUSED_PAD src0_sel:WORD_1 src1_sel:WORD_1
	v_fma_f16 v60, v153, -0.5, v60
	v_pk_add_f16 v146, v146, v76
	v_fma_f16 v153, v152, s10, v60
	v_sub_f16_sdwa v72, v76, v72 dst_sel:DWORD dst_unused:UNUSED_PAD src0_sel:WORD_1 src1_sel:WORD_1
	v_sub_f16_sdwa v76, v133, v135 dst_sel:DWORD dst_unused:UNUSED_PAD src0_sel:WORD_1 src1_sel:WORD_1
	v_fma_f16 v60, v152, s1, v60
	v_fma_f16 v153, v150, s0, v153
	v_add_f16_e32 v72, v72, v76
	v_fma_f16 v60, v150, s9, v60
	v_fma_f16 v76, v72, s8, v153
	v_fma_f16 v72, v72, s8, v60
	v_mul_f16_e32 v60, 0xb8b4, v151
	v_pk_add_f16 v146, v146, v133
	v_fma_f16 v133, v80, s11, v60
	v_mul_f16_e32 v60, 0xbb9c, v76
	v_fma_f16 v150, v149, s8, v60
	v_mul_f16_e32 v60, 0xbb9c, v72
	;; [unrolled: 2-line block ×3, first 2 shown]
	v_mul_f16_e32 v76, 0x34f2, v76
	v_mul_f16_e32 v148, 0xba79, v148
	v_fma_f16 v155, v68, s13, v60
	v_fma_f16 v76, v149, s1, v76
	v_mul_f16_e32 v72, 0xb4f2, v72
	v_fma_f16 v68, v68, s0, v148
	v_pk_add_f16 v146, v146, v135
	v_mul_f16_e32 v80, 0x38b4, v80
	v_add_f16_e32 v149, v74, v76
	v_fma_f16 v72, v78, s1, v72
	v_add_f16_e32 v148, v144, v68
	v_sub_f16_e32 v74, v74, v76
	v_sub_f16_e32 v76, v144, v68
	v_add_f16_e32 v68, v69, v71
	v_pk_add_f16 v60, v143, v146
	v_fma_f16 v80, v151, s11, v80
	v_add_f16_e32 v78, v62, v72
	v_sub_f16_e32 v72, v62, v72
	v_pk_add_f16 v62, v143, v146 neg_lo:[0,1] neg_hi:[0,1]
	v_fma_f16 v68, v68, -0.5, v59
	v_sub_f16_sdwa v143, v67, v75 dst_sel:DWORD dst_unused:UNUSED_PAD src0_sel:WORD_1 src1_sel:WORD_1
	v_add_f16_e32 v135, v70, v133
	v_add_f16_e32 v152, v145, v150
	;; [unrolled: 1-line block ×3, first 2 shown]
	v_sub_f16_e32 v70, v70, v133
	v_sub_f16_e32 v133, v145, v150
	;; [unrolled: 1-line block ×3, first 2 shown]
	v_fma_f16 v144, v143, s10, v68
	v_sub_f16_sdwa v145, v69, v71 dst_sel:DWORD dst_unused:UNUSED_PAD src0_sel:WORD_1 src1_sel:WORD_1
	v_sub_f16_e32 v146, v75, v71
	v_sub_f16_e32 v147, v67, v69
	v_fma_f16 v68, v143, s1, v68
	v_fma_f16 v144, v145, s9, v144
	v_add_f16_e32 v146, v147, v146
	v_fma_f16 v68, v145, s0, v68
	v_fma_f16 v144, v146, s8, v144
	;; [unrolled: 1-line block ×3, first 2 shown]
	v_add_f16_e32 v146, v67, v75
	v_fma_f16 v146, v146, -0.5, v59
	v_add_f16_e32 v154, v63, v153
	v_sub_f16_e32 v63, v63, v153
	v_fma_f16 v147, v145, s1, v146
	v_sub_f16_e32 v150, v71, v75
	v_sub_f16_e32 v153, v69, v67
	v_fma_f16 v145, v145, s10, v146
	v_fma_f16 v147, v143, s9, v147
	v_add_f16_e32 v150, v153, v150
	v_fma_f16 v143, v143, s0, v145
	v_pk_add_f16 v145, v59, v67
	v_add_f16_sdwa v146, v69, v71 dst_sel:DWORD dst_unused:UNUSED_PAD src0_sel:WORD_1 src1_sel:WORD_1
	v_lshrrev_b32_e32 v59, 16, v59
	v_fma_f16 v147, v150, s8, v147
	v_fma_f16 v143, v150, s8, v143
	v_fma_f16 v146, v146, -0.5, v59
	v_sub_f16_e32 v150, v67, v75
	v_add_f16_e32 v156, v57, v155
	v_sub_f16_e32 v57, v57, v155
	v_fma_f16 v153, v150, s1, v146
	v_sub_f16_e32 v155, v69, v71
	v_sub_f16_sdwa v157, v67, v69 dst_sel:DWORD dst_unused:UNUSED_PAD src0_sel:WORD_1 src1_sel:WORD_1
	v_sub_f16_sdwa v158, v75, v71 dst_sel:DWORD dst_unused:UNUSED_PAD src0_sel:WORD_1 src1_sel:WORD_1
	v_fma_f16 v146, v150, s10, v146
	v_fma_f16 v153, v155, s0, v153
	v_add_f16_e32 v157, v157, v158
	v_fma_f16 v146, v155, s9, v146
	v_fma_f16 v153, v157, s8, v153
	;; [unrolled: 1-line block ×3, first 2 shown]
	v_add_f16_sdwa v157, v67, v75 dst_sel:DWORD dst_unused:UNUSED_PAD src0_sel:WORD_1 src1_sel:WORD_1
	v_fma_f16 v59, v157, -0.5, v59
	v_pk_add_f16 v145, v145, v69
	v_fma_f16 v157, v155, s10, v59
	v_sub_f16_sdwa v67, v69, v67 dst_sel:DWORD dst_unused:UNUSED_PAD src0_sel:WORD_1 src1_sel:WORD_1
	v_sub_f16_sdwa v69, v71, v75 dst_sel:DWORD dst_unused:UNUSED_PAD src0_sel:WORD_1 src1_sel:WORD_1
	v_fma_f16 v59, v155, s1, v59
	v_fma_f16 v157, v150, s0, v157
	v_add_f16_e32 v67, v67, v69
	v_fma_f16 v59, v150, s9, v59
	v_fma_f16 v69, v67, s8, v157
	;; [unrolled: 1-line block ×3, first 2 shown]
	v_add_f16_e32 v59, v77, v134
	v_pk_add_f16 v145, v145, v71
	v_fma_f16 v59, v59, -0.5, v61
	v_sub_f16_sdwa v71, v73, v136 dst_sel:DWORD dst_unused:UNUSED_PAD src0_sel:WORD_1 src1_sel:WORD_1
	v_pk_add_f16 v145, v145, v75
	v_fma_f16 v75, v71, s10, v59
	v_sub_f16_sdwa v150, v77, v134 dst_sel:DWORD dst_unused:UNUSED_PAD src0_sel:WORD_1 src1_sel:WORD_1
	v_sub_f16_e32 v155, v136, v134
	v_sub_f16_e32 v157, v73, v77
	v_fma_f16 v59, v71, s1, v59
	v_fma_f16 v75, v150, s9, v75
	v_add_f16_e32 v155, v157, v155
	v_fma_f16 v59, v150, s0, v59
	v_fma_f16 v75, v155, s8, v75
	;; [unrolled: 1-line block ×3, first 2 shown]
	v_add_f16_e32 v59, v73, v136
	v_fma_f16 v59, v59, -0.5, v61
	v_fma_f16 v157, v150, s1, v59
	v_sub_f16_e32 v158, v134, v136
	v_sub_f16_e32 v159, v77, v73
	v_fma_f16 v59, v150, s10, v59
	v_add_f16_e32 v158, v159, v158
	v_fma_f16 v59, v71, s0, v59
	v_fma_f16 v157, v71, s9, v157
	;; [unrolled: 1-line block ×3, first 2 shown]
	v_pk_add_f16 v59, v61, v73
	v_pk_add_f16 v59, v59, v77
	;; [unrolled: 1-line block ×4, first 2 shown]
	v_add_f16_sdwa v59, v77, v134 dst_sel:DWORD dst_unused:UNUSED_PAD src0_sel:WORD_1 src1_sel:WORD_1
	v_lshrrev_b32_e32 v61, 16, v61
	v_fma_f16 v157, v158, s8, v157
	v_fma_f16 v59, v59, -0.5, v61
	v_sub_f16_e32 v158, v73, v136
	v_fma_f16 v159, v158, s1, v59
	v_sub_f16_e32 v160, v77, v134
	v_sub_f16_sdwa v161, v73, v77 dst_sel:DWORD dst_unused:UNUSED_PAD src0_sel:WORD_1 src1_sel:WORD_1
	v_sub_f16_sdwa v162, v136, v134 dst_sel:DWORD dst_unused:UNUSED_PAD src0_sel:WORD_1 src1_sel:WORD_1
	v_fma_f16 v59, v158, s10, v59
	v_fma_f16 v159, v160, s0, v159
	v_add_f16_e32 v161, v161, v162
	v_fma_f16 v59, v160, s9, v59
	v_fma_f16 v159, v161, s8, v159
	v_fma_f16 v161, v161, s8, v59
	v_add_f16_sdwa v59, v73, v136 dst_sel:DWORD dst_unused:UNUSED_PAD src0_sel:WORD_1 src1_sel:WORD_1
	v_fma_f16 v59, v59, -0.5, v61
	v_fma_f16 v61, v160, s10, v59
	v_sub_f16_sdwa v73, v77, v73 dst_sel:DWORD dst_unused:UNUSED_PAD src0_sel:WORD_1 src1_sel:WORD_1
	v_sub_f16_sdwa v77, v134, v136 dst_sel:DWORD dst_unused:UNUSED_PAD src0_sel:WORD_1 src1_sel:WORD_1
	v_fma_f16 v59, v160, s1, v59
	v_fma_f16 v61, v158, s0, v61
	v_add_f16_e32 v73, v73, v77
	v_fma_f16 v59, v158, s9, v59
	v_fma_f16 v61, v73, s8, v61
	;; [unrolled: 1-line block ×3, first 2 shown]
	v_mul_f16_e32 v59, 0xb8b4, v159
	v_fma_f16 v77, v75, s11, v59
	v_mul_f16_e32 v59, 0xbb9c, v61
	v_fma_f16 v136, v157, s8, v59
	;; [unrolled: 2-line block ×3, first 2 shown]
	v_mul_f16_e32 v59, 0xb8b4, v161
	v_mul_f16_e32 v61, 0x34f2, v61
	;; [unrolled: 1-line block ×3, first 2 shown]
	v_fma_f16 v163, v155, s13, v59
	v_fma_f16 v61, v157, s1, v61
	;; [unrolled: 1-line block ×3, first 2 shown]
	v_add_f16_e32 v134, v144, v77
	v_add_f16_e32 v164, v68, v163
	v_mul_f16_e32 v75, 0x38b4, v75
	v_add_f16_e32 v157, v69, v61
	v_add_f16_e32 v73, v67, v71
	v_sub_f16_e32 v77, v144, v77
	v_sub_f16_e32 v144, v68, v163
	;; [unrolled: 1-line block ×4, first 2 shown]
	v_pack_b32_f16 v68, v154, v78
	v_pack_b32_f16 v67, v152, v149
	;; [unrolled: 1-line block ×3, first 2 shown]
	v_fma_f16 v75, v159, s11, v75
	v_mul_f16_e32 v161, 0xba79, v161
	s_waitcnt lgkmcnt(0)
	; wave barrier
	ds_write2_b64 v64, v[60:61], v[67:68] offset1:1
	v_pack_b32_f16 v68, v133, v74
	v_pack_b32_f16 v67, v70, v80
	;; [unrolled: 1-line block ×3, first 2 shown]
	v_add_f16_e32 v158, v147, v136
	v_add_f16_e32 v162, v143, v160
	;; [unrolled: 1-line block ×3, first 2 shown]
	v_fma_f16 v155, v155, s0, v161
	ds_write2_b64 v64, v[61:62], v[67:68] offset0:2 offset1:3
	v_pack_b32_f16 v61, v57, v76
	v_pack_b32_f16 v60, v63, v72
	v_pk_add_f16 v59, v145, v150
	v_add_f16_e32 v161, v146, v155
	v_sub_f16_e32 v136, v147, v136
	v_sub_f16_e32 v75, v153, v75
	ds_write_b64 v64, v[60:61] offset:32
	v_pack_b32_f16 v62, v162, v73
	v_pack_b32_f16 v61, v158, v157
	;; [unrolled: 1-line block ×3, first 2 shown]
	v_sub_f16_e32 v143, v143, v160
	v_sub_f16_e32 v146, v146, v155
	ds_write2_b64 v65, v[59:60], v[61:62] offset1:1
	v_pk_add_f16 v60, v145, v150 neg_lo:[0,1] neg_hi:[0,1]
	v_pack_b32_f16 v62, v136, v69
	v_pack_b32_f16 v61, v77, v75
	;; [unrolled: 1-line block ×3, first 2 shown]
	ds_write2_b64 v65, v[59:60], v[61:62] offset0:2 offset1:3
	v_pack_b32_f16 v60, v144, v146
	v_pack_b32_f16 v59, v143, v71
	ds_write_b64 v65, v[59:60] offset:32
	v_pk_add_f16 v59, v52, v137
	v_pack_b32_f16 v62, v139, v142
	v_pack_b32_f16 v61, v138, v141
	;; [unrolled: 1-line block ×3, first 2 shown]
	v_pk_add_f16 v58, v52, v137 neg_lo:[0,1] neg_hi:[0,1]
	ds_write2_b64 v66, v[59:60], v[61:62] offset1:1
	v_pack_b32_f16 v60, v54, v132
	v_pack_b32_f16 v59, v53, v129
	;; [unrolled: 1-line block ×3, first 2 shown]
	ds_write2_b64 v66, v[57:58], v[59:60] offset0:2 offset1:3
	v_pack_b32_f16 v60, v56, v131
	v_pack_b32_f16 v59, v55, v130
	ds_write_b64 v66, v[59:60] offset:32
	s_waitcnt lgkmcnt(0)
	; wave barrier
	s_waitcnt lgkmcnt(0)
	ds_read2_b32 v[79:80], v92 offset0:60 offset1:76
	ds_read2_b32 v[65:66], v92 offset0:92 offset1:120
	ds_read2_b32 v[77:78], v92 offset0:180 offset1:196
	ds_read2_b32 v[63:64], v92 offset0:212 offset1:240
	ds_read2_b32 v[75:76], v127 offset0:44 offset1:60
	ds_read2_b32 v[61:62], v127 offset0:76 offset1:104
	ds_read2_b32 v[73:74], v127 offset0:164 offset1:180
	ds_read2_b32 v[59:60], v92 offset0:16 offset1:32
	ds_read2_b32 v[71:72], v92 offset0:136 offset1:152
	ds_read2_b32 v[69:70], v127 offset1:16
	ds_read2_b32 v[67:68], v127 offset0:120 offset1:136
	ds_read_b32 v57, v113
	ds_read_b32 v133, v92 offset:1808
	s_and_saveexec_b64 s[0:1], vcc
	s_cbranch_execz .LBB0_7
; %bb.6:
	ds_read2_b32 v[51:52], v92 offset0:48 offset1:108
	ds_read2_b32 v[53:54], v92 offset0:168 offset1:228
	;; [unrolled: 1-line block ×4, first 2 shown]
	s_waitcnt lgkmcnt(3)
	v_lshrrev_b32_e32 v128, 16, v51
	s_waitcnt lgkmcnt(2)
	v_lshrrev_b32_e32 v129, 16, v53
	v_lshrrev_b32_e32 v132, 16, v54
	s_waitcnt lgkmcnt(1)
	v_lshrrev_b32_e32 v130, 16, v55
	;; [unrolled: 3-line block ×3, first 2 shown]
	v_lshrrev_b32_e32 v123, 16, v50
	v_mov_b32_e32 v58, v52
.LBB0_7:
	s_or_b64 exec, exec, s[0:1]
	s_waitcnt lgkmcnt(12)
	v_lshrrev_b32_e32 v127, 16, v79
	v_mul_f16_sdwa v156, v4, v127 dst_sel:DWORD dst_unused:UNUSED_PAD src0_sel:WORD_1 src1_sel:DWORD
	s_waitcnt lgkmcnt(11)
	v_lshrrev_b32_e32 v134, 16, v66
	v_fma_f16 v156, v4, v79, v156
	v_mul_f16_sdwa v79, v4, v79 dst_sel:DWORD dst_unused:UNUSED_PAD src0_sel:WORD_1 src1_sel:DWORD
	v_fma_f16 v4, v4, v127, -v79
	v_mul_f16_sdwa v79, v5, v134 dst_sel:DWORD dst_unused:UNUSED_PAD src0_sel:WORD_1 src1_sel:DWORD
	s_waitcnt lgkmcnt(10)
	v_lshrrev_b32_e32 v135, 16, v77
	v_fma_f16 v79, v5, v66, v79
	v_mul_f16_sdwa v66, v5, v66 dst_sel:DWORD dst_unused:UNUSED_PAD src0_sel:WORD_1 src1_sel:DWORD
	v_fma_f16 v5, v5, v134, -v66
	;; [unrolled: 6-line block ×6, first 2 shown]
	v_mul_f16_sdwa v62, v41, v139 dst_sel:DWORD dst_unused:UNUSED_PAD src0_sel:WORD_1 src1_sel:DWORD
	v_lshrrev_b32_e32 v141, 16, v80
	v_fma_f16 v62, v41, v73, v62
	v_mul_f16_sdwa v73, v41, v73 dst_sel:DWORD dst_unused:UNUSED_PAD src0_sel:WORD_1 src1_sel:DWORD
	v_fma_f16 v41, v41, v139, -v73
	v_mul_f16_sdwa v73, v8, v141 dst_sel:DWORD dst_unused:UNUSED_PAD src0_sel:WORD_1 src1_sel:DWORD
	s_waitcnt lgkmcnt(4)
	v_lshrrev_b32_e32 v142, 16, v71
	v_fma_f16 v73, v8, v80, v73
	v_mul_f16_sdwa v80, v8, v80 dst_sel:DWORD dst_unused:UNUSED_PAD src0_sel:WORD_1 src1_sel:DWORD
	v_fma_f16 v8, v8, v141, -v80
	v_mul_f16_sdwa v80, v9, v142 dst_sel:DWORD dst_unused:UNUSED_PAD src0_sel:WORD_1 src1_sel:DWORD
	v_lshrrev_b32_e32 v143, 16, v78
	v_fma_f16 v80, v9, v71, v80
	v_mul_f16_sdwa v71, v9, v71 dst_sel:DWORD dst_unused:UNUSED_PAD src0_sel:WORD_1 src1_sel:DWORD
	v_fma_f16 v9, v9, v142, -v71
	v_mul_f16_sdwa v71, v10, v143 dst_sel:DWORD dst_unused:UNUSED_PAD src0_sel:WORD_1 src1_sel:DWORD
	s_waitcnt lgkmcnt(3)
	v_lshrrev_b32_e32 v144, 16, v69
	v_fma_f16 v71, v10, v78, v71
	v_mul_f16_sdwa v78, v10, v78 dst_sel:DWORD dst_unused:UNUSED_PAD src0_sel:WORD_1 src1_sel:DWORD
	v_fma_f16 v10, v10, v143, -v78
	;; [unrolled: 11-line block ×3, first 2 shown]
	v_mul_f16_sdwa v76, v43, v146 dst_sel:DWORD dst_unused:UNUSED_PAD src0_sel:WORD_1 src1_sel:DWORD
	v_lshrrev_b32_e32 v147, 16, v74
	v_fma_f16 v76, v43, v67, v76
	v_mul_f16_sdwa v67, v43, v67 dst_sel:DWORD dst_unused:UNUSED_PAD src0_sel:WORD_1 src1_sel:DWORD
	v_fma_f16 v43, v43, v146, -v67
	v_mul_f16_sdwa v67, v44, v147 dst_sel:DWORD dst_unused:UNUSED_PAD src0_sel:WORD_1 src1_sel:DWORD
	v_lshrrev_b32_e32 v149, 16, v65
	v_fma_f16 v67, v44, v74, v67
	v_mul_f16_sdwa v74, v44, v74 dst_sel:DWORD dst_unused:UNUSED_PAD src0_sel:WORD_1 src1_sel:DWORD
	v_fma_f16 v44, v44, v147, -v74
	;; [unrolled: 5-line block ×7, first 2 shown]
	v_mul_f16_sdwa v61, v46, v154 dst_sel:DWORD dst_unused:UNUSED_PAD src0_sel:WORD_1 src1_sel:DWORD
	s_waitcnt lgkmcnt(1)
	v_lshrrev_b32_e32 v52, 16, v57
	s_waitcnt lgkmcnt(0)
	v_lshrrev_b32_e32 v155, 16, v133
	v_fma_f16 v61, v46, v68, v61
	v_mul_f16_sdwa v68, v46, v68 dst_sel:DWORD dst_unused:UNUSED_PAD src0_sel:WORD_1 src1_sel:DWORD
	v_fma_f16 v46, v46, v154, -v68
	v_mul_f16_sdwa v68, v47, v155 dst_sel:DWORD dst_unused:UNUSED_PAD src0_sel:WORD_1 src1_sel:DWORD
	v_mul_f16_sdwa v127, v47, v133 dst_sel:DWORD dst_unused:UNUSED_PAD src0_sel:WORD_1 src1_sel:DWORD
	v_sub_f16_e32 v77, v57, v77
	v_sub_f16_e32 v7, v52, v7
	;; [unrolled: 1-line block ×8, first 2 shown]
	v_fma_f16 v68, v47, v133, v68
	v_fma_f16 v47, v47, v155, -v127
	v_fma_f16 v57, v57, 2.0, -v77
	v_fma_f16 v52, v52, 2.0, -v7
	;; [unrolled: 1-line block ×8, first 2 shown]
	v_add_f16_e32 v40, v77, v40
	v_sub_f16_e32 v75, v7, v75
	v_add_f16_e32 v41, v64, v41
	v_sub_f16_e32 v62, v39, v62
	v_sub_f16_e32 v79, v57, v79
	;; [unrolled: 1-line block ×3, first 2 shown]
	v_fma_f16 v77, v77, 2.0, -v40
	v_fma_f16 v7, v7, 2.0, -v75
	v_sub_f16_e32 v66, v127, v66
	v_sub_f16_e32 v6, v4, v6
	v_fma_f16 v64, v64, 2.0, -v41
	v_fma_f16 v39, v39, 2.0, -v62
	s_mov_b32 s8, 0xb9a8
	v_lshrrev_b32_e32 v140, 16, v59
	v_fma_f16 v57, v57, 2.0, -v79
	v_fma_f16 v52, v52, 2.0, -v5
	;; [unrolled: 1-line block ×4, first 2 shown]
	v_fma_f16 v133, v64, s8, v77
	v_fma_f16 v134, v39, s8, v7
	s_movk_i32 s9, 0x39a8
	v_sub_f16_e32 v127, v57, v127
	v_sub_f16_e32 v4, v52, v4
	v_fma_f16 v39, v39, s9, v133
	v_fma_f16 v64, v64, s8, v134
	;; [unrolled: 1-line block ×4, first 2 shown]
	v_sub_f16_e32 v78, v59, v78
	v_sub_f16_e32 v11, v140, v11
	;; [unrolled: 1-line block ×8, first 2 shown]
	v_fma_f16 v57, v57, 2.0, -v127
	v_fma_f16 v52, v52, 2.0, -v4
	;; [unrolled: 1-line block ×4, first 2 shown]
	v_add_f16_e32 v6, v79, v6
	v_sub_f16_e32 v66, v5, v66
	v_fma_f16 v62, v62, s9, v133
	v_fma_f16 v41, v41, s8, v134
	v_fma_f16 v59, v59, 2.0, -v78
	v_fma_f16 v133, v140, 2.0, -v11
	v_fma_f16 v80, v80, 2.0, -v76
	v_fma_f16 v9, v9, 2.0, -v43
	v_fma_f16 v73, v73, 2.0, -v69
	v_fma_f16 v8, v8, 2.0, -v42
	v_fma_f16 v71, v71, 2.0, -v67
	v_fma_f16 v10, v10, 2.0, -v44
	v_add_f16_e32 v43, v78, v43
	v_sub_f16_e32 v76, v11, v76
	v_add_f16_e32 v44, v69, v44
	v_sub_f16_e32 v67, v42, v67
	v_fma_f16 v79, v79, 2.0, -v6
	v_fma_f16 v5, v5, 2.0, -v66
	;; [unrolled: 1-line block ×4, first 2 shown]
	v_sub_f16_e32 v80, v59, v80
	v_sub_f16_e32 v9, v133, v9
	v_fma_f16 v78, v78, 2.0, -v43
	v_fma_f16 v11, v11, 2.0, -v76
	v_sub_f16_e32 v71, v73, v71
	v_sub_f16_e32 v10, v8, v10
	v_fma_f16 v69, v69, 2.0, -v44
	v_fma_f16 v42, v42, 2.0, -v67
	v_pack_b32_f16 v52, v57, v52
	v_pack_b32_f16 v7, v77, v7
	v_lshrrev_b32_e32 v148, 16, v60
	v_fma_f16 v59, v59, 2.0, -v80
	v_fma_f16 v133, v133, 2.0, -v9
	;; [unrolled: 1-line block ×4, first 2 shown]
	v_fma_f16 v134, v69, s8, v78
	v_fma_f16 v135, v42, s8, v11
	s_waitcnt lgkmcnt(0)
	; wave barrier
	ds_write2_b32 v124, v52, v7 offset1:10
	v_pack_b32_f16 v5, v79, v5
	v_pack_b32_f16 v7, v40, v75
	v_sub_f16_e32 v73, v59, v73
	v_sub_f16_e32 v8, v133, v8
	v_fma_f16 v42, v42, s9, v134
	v_fma_f16 v69, v69, s8, v135
	;; [unrolled: 1-line block ×4, first 2 shown]
	v_sub_f16_e32 v63, v60, v63
	v_sub_f16_e32 v15, v148, v15
	;; [unrolled: 1-line block ×8, first 2 shown]
	ds_write2_b32 v124, v5, v7 offset0:20 offset1:30
	v_pack_b32_f16 v4, v127, v4
	v_pack_b32_f16 v5, v39, v64
	v_fma_f16 v59, v59, 2.0, -v73
	v_fma_f16 v133, v133, 2.0, -v8
	;; [unrolled: 1-line block ×4, first 2 shown]
	v_add_f16_e32 v10, v80, v10
	v_sub_f16_e32 v71, v9, v71
	v_fma_f16 v67, v67, s9, v134
	v_fma_f16 v44, v44, s8, v135
	v_fma_f16 v60, v60, 2.0, -v63
	v_fma_f16 v134, v148, 2.0, -v15
	;; [unrolled: 1-line block ×8, first 2 shown]
	v_add_f16_e32 v46, v63, v46
	v_sub_f16_e32 v61, v15, v61
	v_add_f16_e32 v47, v70, v47
	v_sub_f16_e32 v68, v45, v68
	ds_write2_b32 v124, v4, v5 offset0:40 offset1:50
	v_pack_b32_f16 v4, v6, v66
	v_pack_b32_f16 v5, v62, v41
	v_fma_f16 v80, v80, 2.0, -v10
	v_fma_f16 v9, v9, 2.0, -v71
	;; [unrolled: 1-line block ×4, first 2 shown]
	v_sub_f16_e32 v65, v60, v65
	v_sub_f16_e32 v13, v134, v13
	v_fma_f16 v63, v63, 2.0, -v46
	v_fma_f16 v15, v15, 2.0, -v61
	v_sub_f16_e32 v72, v74, v72
	v_sub_f16_e32 v14, v12, v14
	v_fma_f16 v70, v70, 2.0, -v47
	v_fma_f16 v45, v45, 2.0, -v68
	ds_write2_b32 v124, v4, v5 offset0:60 offset1:70
	v_pack_b32_f16 v4, v59, v133
	v_pack_b32_f16 v5, v78, v11
	v_fma_f16 v60, v60, 2.0, -v65
	v_fma_f16 v134, v134, 2.0, -v13
	;; [unrolled: 1-line block ×4, first 2 shown]
	v_fma_f16 v135, v70, s8, v63
	v_fma_f16 v136, v45, s8, v15
	ds_write2_b32 v125, v4, v5 offset1:10
	v_pack_b32_f16 v4, v80, v9
	v_pack_b32_f16 v5, v43, v76
	v_sub_f16_e32 v74, v60, v74
	v_sub_f16_e32 v12, v134, v12
	v_fma_f16 v45, v45, s9, v135
	v_fma_f16 v70, v70, s8, v136
	;; [unrolled: 1-line block ×4, first 2 shown]
	ds_write2_b32 v125, v4, v5 offset0:20 offset1:30
	v_pack_b32_f16 v4, v73, v8
	v_pack_b32_f16 v5, v42, v69
	v_fma_f16 v60, v60, 2.0, -v74
	v_fma_f16 v134, v134, 2.0, -v12
	;; [unrolled: 1-line block ×4, first 2 shown]
	v_add_f16_e32 v14, v65, v14
	v_sub_f16_e32 v72, v13, v72
	v_fma_f16 v68, v68, s9, v135
	v_fma_f16 v47, v47, s8, v136
	ds_write2_b32 v125, v4, v5 offset0:40 offset1:50
	v_pack_b32_f16 v4, v10, v71
	v_pack_b32_f16 v5, v67, v44
	v_fma_f16 v65, v65, 2.0, -v14
	v_fma_f16 v13, v13, 2.0, -v72
	;; [unrolled: 1-line block ×4, first 2 shown]
	ds_write2_b32 v125, v4, v5 offset0:60 offset1:70
	v_pack_b32_f16 v4, v60, v134
	v_pack_b32_f16 v5, v63, v15
	ds_write2_b32 v126, v4, v5 offset1:10
	v_pack_b32_f16 v4, v65, v13
	v_pack_b32_f16 v5, v46, v61
	ds_write2_b32 v126, v4, v5 offset0:20 offset1:30
	v_pack_b32_f16 v4, v74, v12
	v_pack_b32_f16 v5, v45, v70
	ds_write2_b32 v126, v4, v5 offset0:40 offset1:50
	v_pack_b32_f16 v4, v14, v72
	v_pack_b32_f16 v5, v68, v47
	ds_write2_b32 v126, v4, v5 offset0:60 offset1:70
	s_and_saveexec_b64 s[0:1], vcc
	s_cbranch_execz .LBB0_9
; %bb.8:
	v_lshrrev_b32_e32 v8, 16, v58
	v_mul_f16_sdwa v9, v0, v58 dst_sel:DWORD dst_unused:UNUSED_PAD src0_sel:WORD_1 src1_sel:DWORD
	v_fma_f16 v9, v0, v8, -v9
	v_mul_f16_sdwa v11, v2, v132 dst_sel:DWORD dst_unused:UNUSED_PAD src0_sel:WORD_1 src1_sel:DWORD
	v_mul_f16_sdwa v14, v2, v54 dst_sel:DWORD dst_unused:UNUSED_PAD src0_sel:WORD_1 src1_sel:DWORD
	;; [unrolled: 1-line block ×6, first 2 shown]
	v_fma_f16 v11, v2, v54, v11
	v_fma_f16 v2, v2, v132, -v14
	v_mul_f16_sdwa v14, v38, v50 dst_sel:DWORD dst_unused:UNUSED_PAD src0_sel:WORD_1 src1_sel:DWORD
	v_fma_f16 v0, v0, v58, v8
	v_mul_f16_sdwa v8, v36, v131 dst_sel:DWORD dst_unused:UNUSED_PAD src0_sel:WORD_1 src1_sel:DWORD
	v_mul_f16_sdwa v39, v3, v55 dst_sel:DWORD dst_unused:UNUSED_PAD src0_sel:WORD_1 src1_sel:DWORD
	v_fma_f16 v4, v1, v129, -v4
	v_fma_f16 v5, v37, v122, -v5
	v_fma_f16 v6, v3, v55, v6
	v_mul_f16_sdwa v10, v36, v56 dst_sel:DWORD dst_unused:UNUSED_PAD src0_sel:WORD_1 src1_sel:DWORD
	v_mul_f16_sdwa v12, v38, v123 dst_sel:DWORD dst_unused:UNUSED_PAD src0_sel:WORD_1 src1_sel:DWORD
	v_fma_f16 v14, v38, v123, -v14
	v_fma_f16 v8, v36, v56, v8
	v_fma_f16 v3, v3, v130, -v39
	v_mul_f16_sdwa v39, v1, v129 dst_sel:DWORD dst_unused:UNUSED_PAD src0_sel:WORD_1 src1_sel:DWORD
	v_sub_f16_e32 v5, v4, v5
	v_sub_f16_e32 v6, v51, v6
	v_fma_f16 v10, v36, v131, -v10
	v_fma_f16 v12, v38, v50, v12
	v_sub_f16_e32 v14, v2, v14
	v_sub_f16_e32 v8, v0, v8
	v_fma_f16 v1, v1, v53, v39
	v_mul_f16_sdwa v39, v37, v122 dst_sel:DWORD dst_unused:UNUSED_PAD src0_sel:WORD_1 src1_sel:DWORD
	v_add_f16_e32 v7, v5, v6
	v_sub_f16_e32 v10, v9, v10
	v_sub_f16_e32 v12, v11, v12
	v_add_f16_e32 v15, v14, v8
	v_fma_f16 v37, v37, v49, v39
	v_sub_f16_e32 v13, v10, v12
	v_fma_f16 v36, v15, s9, v7
	v_sub_f16_e32 v3, v128, v3
	v_sub_f16_e32 v37, v1, v37
	v_fma_f16 v36, v13, s9, v36
	v_sub_f16_e32 v39, v3, v37
	v_fma_f16 v42, v51, 2.0, -v6
	v_fma_f16 v1, v1, 2.0, -v37
	;; [unrolled: 1-line block ×11, first 2 shown]
	v_sub_f16_e32 v1, v42, v1
	v_sub_f16_e32 v2, v9, v2
	;; [unrolled: 1-line block ×4, first 2 shown]
	v_fma_f16 v7, v10, 2.0, -v13
	v_fma_f16 v10, v8, s8, v6
	v_fma_f16 v3, v3, 2.0, -v39
	v_fma_f16 v40, v13, s9, v39
	v_add_f16_e32 v14, v1, v2
	v_sub_f16_e32 v11, v4, v5
	v_fma_f16 v10, v7, s9, v10
	v_fma_f16 v7, v7, s8, v3
	;; [unrolled: 1-line block ×3, first 2 shown]
	v_fma_f16 v37, v1, 2.0, -v14
	v_fma_f16 v12, v4, 2.0, -v11
	v_fma_f16 v7, v8, s8, v7
	v_fma_f16 v1, v42, 2.0, -v1
	v_fma_f16 v0, v0, 2.0, -v5
	;; [unrolled: 1-line block ×4, first 2 shown]
	s_movk_i32 s8, 0x50
	v_sub_f16_e32 v0, v1, v0
	v_sub_f16_e32 v2, v4, v2
	v_mul_u32_u24_sdwa v5, v115, s8 dst_sel:DWORD dst_unused:UNUSED_PAD src0_sel:BYTE_1 src1_sel:DWORD
	v_fma_f16 v6, v6, 2.0, -v10
	v_fma_f16 v3, v3, 2.0, -v7
	;; [unrolled: 1-line block ×4, first 2 shown]
	v_or_b32_e32 v5, v5, v116
	v_fma_f16 v41, v39, 2.0, -v40
	v_add_lshl_u32 v5, v114, v5, 2
	v_pack_b32_f16 v1, v1, v4
	v_pack_b32_f16 v3, v6, v3
	ds_write2_b32 v5, v1, v3 offset1:10
	v_pack_b32_f16 v1, v37, v12
	v_pack_b32_f16 v3, v38, v41
	ds_write2_b32 v5, v1, v3 offset0:20 offset1:30
	v_pack_b32_f16 v0, v0, v2
	v_pack_b32_f16 v1, v10, v7
	ds_write2_b32 v5, v0, v1 offset0:40 offset1:50
	v_pack_b32_f16 v0, v14, v11
	v_pack_b32_f16 v1, v36, v40
	ds_write2_b32 v5, v0, v1 offset0:60 offset1:70
.LBB0_9:
	s_or_b64 exec, exec, s[0:1]
	s_waitcnt lgkmcnt(0)
	; wave barrier
	s_waitcnt lgkmcnt(0)
	ds_read_b32 v2, v113
	ds_read2_b32 v[0:1], v92 offset0:80 offset1:96
	ds_read_b32 v47, v92 offset:1856
	ds_read2_b32 v[4:5], v92 offset0:144 offset1:160
	v_add_u32_e32 v3, 0x200, v92
	ds_read2_b32 v[6:7], v3 offset0:112 offset1:128
	s_waitcnt lgkmcnt(3)
	v_lshrrev_b32_e32 v54, 16, v0
	v_add_u32_e32 v36, 0x400, v92
	ds_read2_b32 v[8:9], v36 offset0:48 offset1:64
	v_mul_f16_sdwa v116, v16, v54 dst_sel:DWORD dst_unused:UNUSED_PAD src0_sel:WORD_1 src1_sel:DWORD
	s_waitcnt lgkmcnt(2)
	v_lshrrev_b32_e32 v55, 16, v5
	v_fma_f16 v116, v16, v0, v116
	v_mul_f16_sdwa v0, v16, v0 dst_sel:DWORD dst_unused:UNUSED_PAD src0_sel:WORD_1 src1_sel:DWORD
	v_fma_f16 v0, v16, v54, -v0
	v_mul_f16_sdwa v16, v17, v55 dst_sel:DWORD dst_unused:UNUSED_PAD src0_sel:WORD_1 src1_sel:DWORD
	ds_read2_b32 v[10:11], v36 offset0:144 offset1:160
	ds_read2_b32 v[12:13], v92 offset0:16 offset1:32
	s_waitcnt lgkmcnt(3)
	v_lshrrev_b32_e32 v56, 16, v6
	ds_read2_b32 v[14:15], v92 offset0:176 offset1:192
	v_fma_f16 v16, v17, v5, v16
	v_mul_f16_sdwa v5, v17, v5 dst_sel:DWORD dst_unused:UNUSED_PAD src0_sel:WORD_1 src1_sel:DWORD
	v_fma_f16 v5, v17, v55, -v5
	v_mul_f16_sdwa v17, v18, v56 dst_sel:DWORD dst_unused:UNUSED_PAD src0_sel:WORD_1 src1_sel:DWORD
	s_waitcnt lgkmcnt(3)
	v_lshrrev_b32_e32 v57, 16, v9
	v_fma_f16 v17, v18, v6, v17
	v_mul_f16_sdwa v6, v18, v6 dst_sel:DWORD dst_unused:UNUSED_PAD src0_sel:WORD_1 src1_sel:DWORD
	v_lshrrev_b32_e32 v60, 16, v1
	v_fma_f16 v6, v18, v56, -v6
	v_mul_f16_sdwa v18, v19, v57 dst_sel:DWORD dst_unused:UNUSED_PAD src0_sel:WORD_1 src1_sel:DWORD
	s_waitcnt lgkmcnt(2)
	v_lshrrev_b32_e32 v58, 16, v10
	v_fma_f16 v18, v19, v9, v18
	v_mul_f16_sdwa v9, v19, v9 dst_sel:DWORD dst_unused:UNUSED_PAD src0_sel:WORD_1 src1_sel:DWORD
	v_mul_f16_sdwa v54, v20, v60 dst_sel:DWORD dst_unused:UNUSED_PAD src0_sel:WORD_1 src1_sel:DWORD
	s_waitcnt lgkmcnt(0)
	v_lshrrev_b32_e32 v61, 16, v14
	v_fma_f16 v9, v19, v57, -v9
	v_mul_f16_sdwa v19, v117, v58 dst_sel:DWORD dst_unused:UNUSED_PAD src0_sel:WORD_1 src1_sel:DWORD
	v_fma_f16 v54, v20, v1, v54
	v_mul_f16_sdwa v1, v20, v1 dst_sel:DWORD dst_unused:UNUSED_PAD src0_sel:WORD_1 src1_sel:DWORD
	v_fma_f16 v19, v117, v10, v19
	v_mul_f16_sdwa v10, v117, v10 dst_sel:DWORD dst_unused:UNUSED_PAD src0_sel:WORD_1 src1_sel:DWORD
	v_fma_f16 v1, v20, v60, -v1
	v_mul_f16_sdwa v20, v21, v61 dst_sel:DWORD dst_unused:UNUSED_PAD src0_sel:WORD_1 src1_sel:DWORD
	v_add_f16_e32 v60, v16, v18
	v_lshrrev_b32_e32 v53, 16, v2
	ds_read2_b32 v[37:38], v36 offset0:80 offset1:96
	v_fma_f16 v10, v117, v58, -v10
	v_fma_f16 v20, v21, v14, v20
	v_mul_f16_sdwa v14, v21, v14 dst_sel:DWORD dst_unused:UNUSED_PAD src0_sel:WORD_1 src1_sel:DWORD
	v_add_f16_e32 v58, v2, v16
	v_fma_f16 v2, v60, -0.5, v2
	v_sub_f16_e32 v60, v5, v9
	s_mov_b32 s1, 0xbaee
	s_movk_i32 s0, 0x3aee
	v_lshrrev_b32_e32 v62, 16, v7
	v_fma_f16 v14, v21, v61, -v14
	v_fma_f16 v61, v60, s1, v2
	v_fma_f16 v2, v60, s0, v2
	v_add_f16_e32 v60, v53, v5
	v_mul_f16_sdwa v21, v22, v62 dst_sel:DWORD dst_unused:UNUSED_PAD src0_sel:WORD_1 src1_sel:DWORD
	v_add_f16_e32 v58, v58, v18
	v_add_f16_e32 v60, v60, v9
	;; [unrolled: 1-line block ×3, first 2 shown]
	v_sub_f16_e32 v9, v16, v18
	v_add_f16_e32 v18, v17, v19
	v_fma_f16 v21, v22, v7, v21
	v_mul_f16_sdwa v7, v22, v7 dst_sel:DWORD dst_unused:UNUSED_PAD src0_sel:WORD_1 src1_sel:DWORD
	v_fma_f16 v5, v5, -0.5, v53
	v_fma_f16 v18, v18, -0.5, v116
	v_sub_f16_e32 v53, v6, v10
	v_fma_f16 v7, v22, v62, -v7
	v_fma_f16 v62, v53, s1, v18
	v_fma_f16 v18, v53, s0, v18
	v_add_f16_e32 v53, v0, v6
	v_add_f16_e32 v6, v6, v10
	ds_read2_b32 v[39:40], v92 offset0:112 offset1:128
	s_waitcnt lgkmcnt(1)
	v_lshrrev_b32_e32 v63, 16, v37
	v_fma_f16 v0, v6, -0.5, v0
	v_sub_f16_e32 v6, v17, v19
	v_mul_f16_sdwa v22, v23, v63 dst_sel:DWORD dst_unused:UNUSED_PAD src0_sel:WORD_1 src1_sel:DWORD
	v_add_f16_e32 v53, v53, v10
	v_fma_f16 v10, v6, s0, v0
	v_fma_f16 v22, v23, v37, v22
	v_mul_f16_sdwa v37, v23, v37 dst_sel:DWORD dst_unused:UNUSED_PAD src0_sel:WORD_1 src1_sel:DWORD
	v_fma_f16 v16, v9, s0, v5
	v_fma_f16 v5, v9, s1, v5
	v_add_f16_e32 v9, v116, v17
	v_fma_f16 v0, v6, s1, v0
	v_mul_f16_e32 v17, 0xbaee, v10
	v_mul_f16_e32 v10, 0.5, v10
	v_fma_f16 v23, v23, v63, -v37
	v_mul_f16_e32 v63, 0xbaee, v0
	v_fma_f16 v10, v62, s0, v10
	v_mul_f16_e32 v0, -0.5, v0
	v_lshrrev_b32_e32 v64, 16, v11
	ds_read2_b32 v[41:42], v36 offset0:16 offset1:32
	v_fma_f16 v17, v62, 0.5, v17
	v_add_f16_e32 v62, v16, v10
	v_fma_f16 v0, v18, s0, v0
	v_sub_f16_e32 v10, v16, v10
	v_add_f16_e32 v16, v20, v22
	v_lshrrev_b32_e32 v59, 16, v12
	s_waitcnt lgkmcnt(1)
	v_lshrrev_b32_e32 v66, 16, v39
	v_mul_f16_sdwa v37, v118, v64 dst_sel:DWORD dst_unused:UNUSED_PAD src0_sel:WORD_1 src1_sel:DWORD
	v_add_f16_e32 v9, v9, v19
	v_fma_f16 v63, v18, -0.5, v63
	v_add_f16_e32 v18, v5, v0
	v_sub_f16_e32 v0, v5, v0
	v_add_f16_e32 v5, v12, v20
	v_fma_f16 v12, v16, -0.5, v12
	v_sub_f16_e32 v16, v14, v23
	v_fma_f16 v37, v118, v11, v37
	v_mul_f16_sdwa v11, v118, v11 dst_sel:DWORD dst_unused:UNUSED_PAD src0_sel:WORD_1 src1_sel:DWORD
	v_mul_f16_sdwa v55, v24, v66 dst_sel:DWORD dst_unused:UNUSED_PAD src0_sel:WORD_1 src1_sel:DWORD
	v_add_f16_e32 v6, v58, v9
	v_sub_f16_e32 v9, v58, v9
	v_fma_f16 v58, v16, s1, v12
	v_fma_f16 v12, v16, s0, v12
	v_add_f16_e32 v16, v59, v14
	v_add_f16_e32 v14, v14, v23
	v_lshrrev_b32_e32 v67, 16, v15
	v_fma_f16 v11, v118, v64, -v11
	v_fma_f16 v55, v24, v39, v55
	v_mul_f16_sdwa v39, v24, v39 dst_sel:DWORD dst_unused:UNUSED_PAD src0_sel:WORD_1 src1_sel:DWORD
	v_add_f16_e32 v16, v16, v23
	v_fma_f16 v14, v14, -0.5, v59
	v_sub_f16_e32 v20, v20, v22
	v_add_f16_e32 v23, v21, v37
	v_fma_f16 v24, v24, v66, -v39
	v_mul_f16_sdwa v39, v25, v67 dst_sel:DWORD dst_unused:UNUSED_PAD src0_sel:WORD_1 src1_sel:DWORD
	v_add_f16_e32 v5, v5, v22
	v_fma_f16 v22, v20, s0, v14
	v_fma_f16 v14, v20, s1, v14
	v_add_f16_e32 v20, v54, v21
	v_fma_f16 v23, v23, -0.5, v54
	v_sub_f16_e32 v54, v7, v11
	ds_read2_b32 v[43:44], v36 offset0:176 offset1:192
	s_waitcnt lgkmcnt(1)
	v_lshrrev_b32_e32 v68, 16, v41
	v_fma_f16 v39, v25, v15, v39
	v_mul_f16_sdwa v15, v25, v15 dst_sel:DWORD dst_unused:UNUSED_PAD src0_sel:WORD_1 src1_sel:DWORD
	v_fma_f16 v59, v54, s1, v23
	v_fma_f16 v23, v54, s0, v23
	v_add_f16_e32 v54, v1, v7
	v_add_f16_e32 v7, v7, v11
	v_fma_f16 v15, v25, v67, -v15
	v_mul_f16_sdwa v25, v26, v68 dst_sel:DWORD dst_unused:UNUSED_PAD src0_sel:WORD_1 src1_sel:DWORD
	v_fma_f16 v1, v7, -0.5, v1
	v_sub_f16_e32 v7, v21, v37
	v_lshrrev_b32_e32 v69, 16, v38
	ds_read2_b32 v[49:50], v92 offset0:208 offset1:224
	v_fma_f16 v25, v26, v41, v25
	v_mul_f16_sdwa v41, v26, v41 dst_sel:DWORD dst_unused:UNUSED_PAD src0_sel:WORD_1 src1_sel:DWORD
	v_add_f16_e32 v54, v54, v11
	v_fma_f16 v11, v7, s0, v1
	v_fma_f16 v26, v26, v68, -v41
	v_mul_f16_sdwa v41, v27, v69 dst_sel:DWORD dst_unused:UNUSED_PAD src0_sel:WORD_1 src1_sel:DWORD
	v_fma_f16 v1, v7, s1, v1
	v_mul_f16_e32 v21, 0xbaee, v11
	v_fma_f16 v41, v27, v38, v41
	v_mul_f16_sdwa v38, v27, v38 dst_sel:DWORD dst_unused:UNUSED_PAD src0_sel:WORD_1 src1_sel:DWORD
	v_add_f16_e32 v66, v60, v53
	v_sub_f16_e32 v53, v60, v53
	v_add_f16_e32 v20, v20, v37
	v_fma_f16 v21, v59, 0.5, v21
	v_mul_f16_e32 v60, 0xbaee, v1
	v_mul_f16_e32 v1, -0.5, v1
	s_waitcnt lgkmcnt(1)
	v_lshrrev_b32_e32 v70, 16, v43
	v_lshrrev_b32_e32 v72, 16, v40
	v_fma_f16 v27, v27, v69, -v38
	v_add_f16_e32 v7, v5, v20
	v_add_f16_e32 v37, v58, v21
	v_mul_f16_e32 v11, 0.5, v11
	v_fma_f16 v1, v23, s0, v1
	v_sub_f16_e32 v5, v5, v20
	v_sub_f16_e32 v20, v58, v21
	v_add_f16_e32 v21, v39, v41
	v_lshrrev_b32_e32 v65, 16, v13
	ds_read2_b32 v[51:52], v36 offset0:112 offset1:128
	v_mul_f16_sdwa v38, v119, v70 dst_sel:DWORD dst_unused:UNUSED_PAD src0_sel:WORD_1 src1_sel:DWORD
	v_mul_f16_sdwa v56, v28, v72 dst_sel:DWORD dst_unused:UNUSED_PAD src0_sel:WORD_1 src1_sel:DWORD
	v_fma_f16 v60, v23, -0.5, v60
	v_fma_f16 v11, v59, s0, v11
	v_add_f16_e32 v23, v14, v1
	v_sub_f16_e32 v1, v14, v1
	v_add_f16_e32 v14, v13, v39
	v_fma_f16 v13, v21, -0.5, v13
	v_sub_f16_e32 v21, v15, v27
	s_waitcnt lgkmcnt(1)
	v_lshrrev_b32_e32 v73, 16, v49
	v_fma_f16 v38, v119, v43, v38
	v_mul_f16_sdwa v43, v119, v43 dst_sel:DWORD dst_unused:UNUSED_PAD src0_sel:WORD_1 src1_sel:DWORD
	v_fma_f16 v56, v28, v40, v56
	v_mul_f16_sdwa v40, v28, v40 dst_sel:DWORD dst_unused:UNUSED_PAD src0_sel:WORD_1 src1_sel:DWORD
	v_add_f16_e32 v59, v22, v11
	v_sub_f16_e32 v11, v22, v11
	v_fma_f16 v22, v21, s1, v13
	v_fma_f16 v13, v21, s0, v13
	v_add_f16_e32 v21, v65, v15
	v_fma_f16 v43, v119, v70, -v43
	v_fma_f16 v28, v28, v72, -v40
	v_mul_f16_sdwa v40, v29, v73 dst_sel:DWORD dst_unused:UNUSED_PAD src0_sel:WORD_1 src1_sel:DWORD
	v_add_f16_e32 v14, v14, v41
	v_add_f16_e32 v21, v21, v27
	;; [unrolled: 1-line block ×3, first 2 shown]
	v_sub_f16_e32 v27, v39, v41
	v_add_f16_e32 v41, v25, v38
	v_lshrrev_b32_e32 v74, 16, v42
	v_fma_f16 v40, v29, v49, v40
	v_mul_f16_sdwa v49, v29, v49 dst_sel:DWORD dst_unused:UNUSED_PAD src0_sel:WORD_1 src1_sel:DWORD
	v_add_f16_e32 v64, v2, v63
	v_sub_f16_e32 v2, v2, v63
	v_add_f16_e32 v63, v16, v54
	v_sub_f16_e32 v16, v16, v54
	v_fma_f16 v15, v15, -0.5, v65
	v_fma_f16 v41, v41, -0.5, v55
	v_sub_f16_e32 v54, v26, v43
	ds_read2_b32 v[45:46], v92 offset0:48 offset1:64
	v_fma_f16 v29, v29, v73, -v49
	v_mul_f16_sdwa v49, v30, v74 dst_sel:DWORD dst_unused:UNUSED_PAD src0_sel:WORD_1 src1_sel:DWORD
	v_fma_f16 v39, v27, s0, v15
	v_fma_f16 v15, v27, s1, v15
	v_add_f16_e32 v27, v55, v25
	v_fma_f16 v55, v54, s1, v41
	v_fma_f16 v41, v54, s0, v41
	v_add_f16_e32 v54, v24, v26
	v_add_f16_e32 v26, v26, v43
	s_waitcnt lgkmcnt(1)
	v_lshrrev_b32_e32 v75, 16, v51
	v_fma_f16 v49, v30, v42, v49
	v_mul_f16_sdwa v42, v30, v42 dst_sel:DWORD dst_unused:UNUSED_PAD src0_sel:WORD_1 src1_sel:DWORD
	v_fma_f16 v24, v26, -0.5, v24
	v_sub_f16_e32 v25, v25, v38
	v_fma_f16 v30, v30, v74, -v42
	v_mul_f16_sdwa v42, v31, v75 dst_sel:DWORD dst_unused:UNUSED_PAD src0_sel:WORD_1 src1_sel:DWORD
	v_fma_f16 v26, v25, s0, v24
	v_fma_f16 v42, v31, v51, v42
	v_mul_f16_sdwa v51, v31, v51 dst_sel:DWORD dst_unused:UNUSED_PAD src0_sel:WORD_1 src1_sel:DWORD
	v_add_f16_e32 v27, v27, v38
	v_fma_f16 v24, v25, s1, v24
	v_mul_f16_e32 v38, 0xbaee, v26
	v_lshrrev_b32_e32 v76, 16, v44
	v_fma_f16 v31, v31, v75, -v51
	v_add_f16_e32 v25, v14, v27
	v_fma_f16 v38, v55, 0.5, v38
	v_mul_f16_e32 v58, 0xbaee, v24
	v_mul_f16_e32 v26, 0.5, v26
	v_mul_f16_e32 v24, -0.5, v24
	v_sub_f16_e32 v14, v14, v27
	v_add_f16_e32 v27, v40, v42
	s_waitcnt lgkmcnt(0)
	v_lshrrev_b32_e32 v71, 16, v45
	v_lshrrev_b32_e32 v78, 16, v4
	v_mul_f16_sdwa v51, v120, v76 dst_sel:DWORD dst_unused:UNUSED_PAD src0_sel:WORD_1 src1_sel:DWORD
	v_add_f16_e32 v54, v54, v43
	v_add_f16_e32 v43, v22, v38
	v_fma_f16 v26, v55, s0, v26
	v_fma_f16 v24, v41, s0, v24
	v_sub_f16_e32 v22, v22, v38
	v_fma_f16 v27, v27, -0.5, v45
	v_sub_f16_e32 v38, v29, v31
	v_fma_f16 v51, v120, v44, v51
	v_mul_f16_sdwa v44, v120, v44 dst_sel:DWORD dst_unused:UNUSED_PAD src0_sel:WORD_1 src1_sel:DWORD
	v_mul_f16_sdwa v57, v32, v78 dst_sel:DWORD dst_unused:UNUSED_PAD src0_sel:WORD_1 src1_sel:DWORD
	v_fma_f16 v58, v41, -0.5, v58
	v_add_f16_e32 v55, v39, v26
	v_add_f16_e32 v41, v15, v24
	v_sub_f16_e32 v26, v39, v26
	v_sub_f16_e32 v15, v15, v24
	v_add_f16_e32 v24, v45, v40
	v_fma_f16 v39, v38, s1, v27
	v_fma_f16 v27, v38, s0, v27
	v_add_f16_e32 v38, v71, v29
	v_lshrrev_b32_e32 v79, 16, v50
	v_fma_f16 v44, v120, v76, -v44
	v_fma_f16 v57, v32, v4, v57
	v_mul_f16_sdwa v4, v32, v4 dst_sel:DWORD dst_unused:UNUSED_PAD src0_sel:WORD_1 src1_sel:DWORD
	v_add_f16_e32 v24, v24, v42
	v_add_f16_e32 v38, v38, v31
	;; [unrolled: 1-line block ×3, first 2 shown]
	v_sub_f16_e32 v31, v40, v42
	v_add_f16_e32 v42, v49, v51
	v_fma_f16 v4, v32, v78, -v4
	v_mul_f16_sdwa v32, v33, v79 dst_sel:DWORD dst_unused:UNUSED_PAD src0_sel:WORD_1 src1_sel:DWORD
	v_fma_f16 v42, v42, -0.5, v56
	v_sub_f16_e32 v45, v30, v44
	v_lshrrev_b32_e32 v80, 16, v8
	v_fma_f16 v32, v33, v50, v32
	v_mul_f16_sdwa v50, v33, v50 dst_sel:DWORD dst_unused:UNUSED_PAD src0_sel:WORD_1 src1_sel:DWORD
	v_add_f16_e32 v65, v21, v54
	v_sub_f16_e32 v21, v21, v54
	v_fma_f16 v54, v45, s1, v42
	v_fma_f16 v42, v45, s0, v42
	v_add_f16_e32 v45, v28, v30
	v_add_f16_e32 v30, v30, v44
	v_fma_f16 v33, v33, v79, -v50
	v_mul_f16_sdwa v50, v34, v80 dst_sel:DWORD dst_unused:UNUSED_PAD src0_sel:WORD_1 src1_sel:DWORD
	v_fma_f16 v28, v30, -0.5, v28
	v_sub_f16_e32 v30, v49, v51
	v_lshrrev_b32_e32 v114, 16, v52
	v_fma_f16 v50, v34, v8, v50
	v_mul_f16_sdwa v8, v34, v8 dst_sel:DWORD dst_unused:UNUSED_PAD src0_sel:WORD_1 src1_sel:DWORD
	v_fma_f16 v29, v29, -0.5, v71
	v_add_f16_e32 v45, v45, v44
	v_fma_f16 v44, v30, s0, v28
	v_fma_f16 v8, v34, v80, -v8
	v_mul_f16_sdwa v34, v35, v114 dst_sel:DWORD dst_unused:UNUSED_PAD src0_sel:WORD_1 src1_sel:DWORD
	v_fma_f16 v40, v31, s0, v29
	v_fma_f16 v29, v31, s1, v29
	v_add_f16_e32 v31, v56, v49
	v_mul_f16_e32 v49, 0xbaee, v44
	v_mul_f16_e32 v44, 0.5, v44
	v_fma_f16 v34, v35, v52, v34
	v_mul_f16_sdwa v52, v35, v52 dst_sel:DWORD dst_unused:UNUSED_PAD src0_sel:WORD_1 src1_sel:DWORD
	v_add_f16_e32 v31, v31, v51
	v_fma_f16 v49, v54, 0.5, v49
	v_fma_f16 v44, v54, s0, v44
	v_lshrrev_b32_e32 v115, 16, v47
	v_fma_f16 v35, v35, v114, -v52
	v_fma_f16 v28, v30, s1, v28
	v_add_f16_e32 v30, v24, v31
	v_add_f16_e32 v51, v39, v49
	v_add_f16_e32 v54, v40, v44
	v_sub_f16_e32 v24, v24, v31
	v_sub_f16_e32 v31, v39, v49
	;; [unrolled: 1-line block ×3, first 2 shown]
	v_add_f16_e32 v40, v32, v34
	v_lshrrev_b32_e32 v77, 16, v46
	v_mul_f16_sdwa v52, v121, v115 dst_sel:DWORD dst_unused:UNUSED_PAD src0_sel:WORD_1 src1_sel:DWORD
	v_fma_f16 v40, v40, -0.5, v46
	v_sub_f16_e32 v44, v33, v35
	v_fma_f16 v52, v121, v47, v52
	v_mul_f16_sdwa v47, v121, v47 dst_sel:DWORD dst_unused:UNUSED_PAD src0_sel:WORD_1 src1_sel:DWORD
	v_mul_f16_e32 v56, 0xbaee, v28
	v_add_f16_e32 v67, v38, v45
	v_mul_f16_e32 v28, -0.5, v28
	v_sub_f16_e32 v38, v38, v45
	v_fma_f16 v45, v44, s1, v40
	v_fma_f16 v40, v44, s0, v40
	v_add_f16_e32 v44, v77, v33
	v_fma_f16 v47, v121, v115, -v47
	v_fma_f16 v28, v42, s0, v28
	v_add_f16_e32 v44, v44, v35
	v_add_f16_e32 v33, v33, v35
	;; [unrolled: 1-line block ×4, first 2 shown]
	v_sub_f16_e32 v17, v61, v17
	v_add_f16_e32 v61, v12, v60
	v_sub_f16_e32 v12, v12, v60
	v_fma_f16 v56, v42, -0.5, v56
	v_add_f16_e32 v42, v29, v28
	v_sub_f16_e32 v28, v29, v28
	v_add_f16_e32 v29, v46, v32
	v_fma_f16 v35, v35, -0.5, v57
	v_sub_f16_e32 v46, v8, v47
	v_pack_b32_f16 v6, v6, v66
	v_add_f16_e32 v60, v13, v58
	v_fma_f16 v49, v46, s1, v35
	v_fma_f16 v35, v46, s0, v35
	v_add_f16_e32 v46, v4, v8
	v_add_f16_e32 v8, v8, v47
	ds_write_b32 v113, v6
	v_pack_b32_f16 v6, v19, v62
	v_pack_b32_f16 v0, v2, v0
	;; [unrolled: 1-line block ×5, first 2 shown]
	v_fma_f16 v33, v33, -0.5, v77
	v_sub_f16_e32 v32, v32, v34
	v_fma_f16 v4, v8, -0.5, v4
	v_sub_f16_e32 v8, v50, v52
	ds_write2_b32 v92, v6, v7 offset0:80 offset1:96
	v_pack_b32_f16 v6, v61, v23
	ds_write2_b32 v36, v0, v1 offset0:144 offset1:160
	v_pack_b32_f16 v0, v25, v65
	v_pack_b32_f16 v1, v60, v41
	v_add_f16_e32 v29, v29, v34
	v_fma_f16 v34, v32, s0, v33
	v_fma_f16 v32, v32, s1, v33
	v_add_f16_e32 v33, v57, v50
	v_add_f16_e32 v46, v46, v47
	v_fma_f16 v47, v8, s0, v4
	v_pack_b32_f16 v9, v9, v53
	v_pack_b32_f16 v5, v5, v16
	ds_write2_b32 v92, v2, v0 offset0:16 offset1:32
	v_pack_b32_f16 v0, v43, v55
	ds_write2_b32 v92, v6, v1 offset0:176 offset1:192
	v_pack_b32_f16 v6, v51, v54
	v_sub_f16_e32 v13, v13, v58
	v_add_f16_e32 v58, v27, v56
	v_sub_f16_e32 v27, v27, v56
	v_add_f16_e32 v33, v33, v52
	v_fma_f16 v4, v8, s1, v4
	v_mul_f16_e32 v50, 0xbaee, v47
	v_mul_f16_e32 v47, 0.5, v47
	ds_write2_b32 v3, v9, v5 offset0:112 offset1:128
	v_pack_b32_f16 v5, v20, v11
	v_pack_b32_f16 v1, v14, v21
	;; [unrolled: 1-line block ×3, first 2 shown]
	ds_write2_b32 v92, v0, v6 offset0:112 offset1:128
	v_pack_b32_f16 v6, v24, v38
	v_add_f16_e32 v8, v29, v33
	v_fma_f16 v50, v49, 0.5, v50
	v_mul_f16_e32 v56, 0xbaee, v4
	v_add_f16_e32 v68, v44, v46
	v_fma_f16 v47, v49, s0, v47
	v_mul_f16_e32 v4, -0.5, v4
	ds_write2_b32 v36, v5, v2 offset0:80 offset1:96
	v_pack_b32_f16 v2, v13, v15
	ds_write2_b32 v36, v1, v6 offset0:16 offset1:32
	v_pack_b32_f16 v6, v27, v28
	v_add_f16_e32 v52, v45, v50
	v_fma_f16 v56, v35, -0.5, v56
	v_add_f16_e32 v49, v34, v47
	v_fma_f16 v4, v35, s0, v4
	v_pack_b32_f16 v5, v30, v67
	ds_write2_b32 v36, v2, v6 offset0:176 offset1:192
	v_pack_b32_f16 v2, v8, v68
	v_add_f16_e32 v57, v40, v56
	v_add_f16_e32 v35, v32, v4
	v_pack_b32_f16 v18, v64, v18
	ds_write2_b32 v92, v5, v2 offset0:48 offset1:64
	v_pack_b32_f16 v2, v52, v49
	v_sub_f16_e32 v29, v29, v33
	v_sub_f16_e32 v44, v44, v46
	v_pack_b32_f16 v0, v58, v42
	ds_write2_b32 v92, v2, v18 offset0:144 offset1:160
	v_pack_b32_f16 v2, v57, v35
	v_sub_f16_e32 v33, v45, v50
	v_sub_f16_e32 v34, v34, v47
	;; [unrolled: 5-line block ×3, first 2 shown]
	v_pack_b32_f16 v1, v31, v39
	ds_write2_b32 v36, v0, v10 offset0:48 offset1:64
	v_pack_b32_f16 v0, v33, v34
	ds_write2_b32 v36, v1, v0 offset0:112 offset1:128
	v_pack_b32_f16 v0, v40, v4
	ds_write_b32 v92, v0 offset:1856
	s_waitcnt lgkmcnt(0)
	; wave barrier
	s_waitcnt lgkmcnt(0)
	ds_read_b32 v0, v113
	ds_read_b32 v17, v92 offset:1856
	s_mov_b32 s8, 0x11111111
	s_mov_b32 s9, 0x3f611111
	v_mov_b32_e32 v16, 0x7c00
	s_waitcnt lgkmcnt(1)
	v_lshrrev_b32_e32 v8, 16, v0
	v_mul_f16_sdwa v1, v112, v8 dst_sel:DWORD dst_unused:UNUSED_PAD src0_sel:WORD_1 src1_sel:DWORD
	v_fma_f16 v1, v112, v0, v1
	v_cvt_f32_f16_e32 v4, v1
	v_mad_u64_u32 v[1:2], s[0:1], s6, v48, 0
	s_movk_i32 s6, 0x1ff
	v_cvt_f64_f32_e32 v[4:5], v4
	v_mad_u64_u32 v[6:7], s[0:1], s7, v48, v[2:3]
	s_movk_i32 s7, 0xffe
	v_mul_f64 v[4:5], v[4:5], s[8:9]
	v_mov_b32_e32 v2, v6
	v_mul_f16_sdwa v0, v112, v0 dst_sel:DWORD dst_unused:UNUSED_PAD src0_sel:WORD_1 src1_sel:DWORD
	v_fma_f16 v0, v112, v8, -v0
	v_cvt_f32_f16_e32 v0, v0
	s_movk_i32 s10, 0x40f
	s_mov_b32 s11, 0x8000
	v_and_or_b32 v4, v5, s6, v4
	v_cmp_ne_u32_e32 vcc, 0, v4
	v_cndmask_b32_e64 v4, 0, 1, vcc
	v_lshrrev_b32_e32 v6, 8, v5
	v_bfe_u32 v7, v5, 20, 11
	v_and_or_b32 v4, v6, s7, v4
	v_sub_u32_e32 v9, 0x3f1, v7
	v_or_b32_e32 v6, 0x1000, v4
	v_med3_i32 v9, v9, 0, 13
	v_lshrrev_b32_e32 v10, v9, v6
	v_lshlrev_b32_e32 v9, v9, v10
	v_cmp_ne_u32_e32 vcc, v9, v6
	v_cndmask_b32_e64 v6, 0, 1, vcc
	v_add_u32_e32 v9, 0xfffffc10, v7
	v_or_b32_e32 v6, v10, v6
	v_lshl_or_b32 v7, v9, 12, v4
	v_cmp_gt_i32_e32 vcc, 1, v9
	v_cndmask_b32_e32 v6, v7, v6, vcc
	v_and_b32_e32 v7, 7, v6
	v_cmp_lt_i32_e32 vcc, 5, v7
	v_cmp_eq_u32_e64 s[0:1], 3, v7
	v_lshrrev_b32_e32 v6, 2, v6
	s_or_b64 vcc, s[0:1], vcc
	v_addc_co_u32_e32 v8, vcc, 0, v6, vcc
	v_cvt_f64_f32_e32 v[6:7], v0
	v_cmp_gt_i32_e32 vcc, 31, v9
	v_cndmask_b32_e32 v0, v16, v8, vcc
	v_cmp_ne_u32_e32 vcc, 0, v4
	v_mul_f64 v[6:7], v[6:7], s[8:9]
	v_cndmask_b32_e64 v4, 0, 1, vcc
	v_lshl_or_b32 v4, v4, 9, v16
	v_cmp_eq_u32_e32 vcc, s10, v9
	v_cndmask_b32_e32 v0, v0, v4, vcc
	v_lshrrev_b32_e32 v4, 16, v5
	v_and_or_b32 v10, v4, s11, v0
	v_and_b32_e32 v10, 0xffff, v10
	v_and_or_b32 v0, v7, s6, v6
	v_cmp_ne_u32_e32 vcc, 0, v0
	v_cndmask_b32_e64 v0, 0, 1, vcc
	v_lshrrev_b32_e32 v4, 8, v7
	v_bfe_u32 v5, v7, 20, 11
	v_and_or_b32 v0, v4, s7, v0
	v_sub_u32_e32 v6, 0x3f1, v5
	v_or_b32_e32 v4, 0x1000, v0
	v_med3_i32 v6, v6, 0, 13
	v_lshrrev_b32_e32 v8, v6, v4
	v_lshlrev_b32_e32 v6, v6, v8
	v_cmp_ne_u32_e32 vcc, v6, v4
	v_cndmask_b32_e64 v4, 0, 1, vcc
	v_add_u32_e32 v5, 0xfffffc10, v5
	v_or_b32_e32 v4, v8, v4
	v_lshl_or_b32 v6, v5, 12, v0
	v_cmp_gt_i32_e32 vcc, 1, v5
	v_cndmask_b32_e32 v4, v6, v4, vcc
	v_and_b32_e32 v6, 7, v4
	v_cmp_lt_i32_e32 vcc, 5, v6
	v_cmp_eq_u32_e64 s[0:1], 3, v6
	v_lshrrev_b32_e32 v4, 2, v4
	s_or_b64 vcc, s[0:1], vcc
	v_addc_co_u32_e32 v4, vcc, 0, v4, vcc
	v_cmp_gt_i32_e32 vcc, 31, v5
	v_cndmask_b32_e32 v4, v16, v4, vcc
	v_cmp_ne_u32_e32 vcc, 0, v0
	v_cndmask_b32_e64 v0, 0, 1, vcc
	v_lshl_or_b32 v0, v0, 9, v16
	v_cmp_eq_u32_e32 vcc, s10, v5
	v_cndmask_b32_e32 v11, v4, v0, vcc
	ds_read2_b32 v[4:5], v92 offset0:48 offset1:64
	v_mad_u64_u32 v[8:9], s[0:1], s4, v110, 0
	v_lshrrev_b32_e32 v12, 16, v7
	v_and_or_b32 v11, v12, s11, v11
	v_mov_b32_e32 v0, v9
	s_waitcnt lgkmcnt(0)
	v_lshrrev_b32_e32 v13, 16, v4
	v_mad_u64_u32 v[6:7], s[0:1], s5, v110, v[0:1]
	v_mul_f16_sdwa v0, v111, v13 dst_sel:DWORD dst_unused:UNUSED_PAD src0_sel:WORD_1 src1_sel:DWORD
	v_fma_f16 v0, v111, v4, v0
	v_cvt_f32_f16_e32 v0, v0
	v_mov_b32_e32 v9, v6
	v_lshl_or_b32 v10, v11, 16, v10
	v_cvt_f64_f32_e32 v[6:7], v0
	v_lshlrev_b64 v[0:1], 2, v[1:2]
	v_mov_b32_e32 v2, s3
	v_add_co_u32_e32 v11, vcc, s2, v0
	v_mul_f64 v[6:7], v[6:7], s[8:9]
	v_addc_co_u32_e32 v2, vcc, v2, v1, vcc
	v_lshlrev_b64 v[0:1], 2, v[8:9]
	s_mul_hi_u32 s2, s4, 0xc0
	v_add_co_u32_e32 v8, vcc, v11, v0
	v_addc_co_u32_e32 v9, vcc, v2, v1, vcc
	v_and_or_b32 v0, v7, s6, v6
	v_cmp_ne_u32_e32 vcc, 0, v0
	v_cndmask_b32_e64 v0, 0, 1, vcc
	v_lshrrev_b32_e32 v1, 8, v7
	v_and_or_b32 v6, v1, s7, v0
	v_bfe_u32 v1, v7, 20, 11
	v_sub_u32_e32 v2, 0x3f1, v1
	v_or_b32_e32 v0, 0x1000, v6
	v_med3_i32 v2, v2, 0, 13
	global_store_dword v[8:9], v10, off
	v_lshrrev_b32_e32 v10, v2, v0
	v_lshlrev_b32_e32 v2, v2, v10
	v_cmp_ne_u32_e32 vcc, v2, v0
	v_mul_f16_sdwa v2, v111, v4 dst_sel:DWORD dst_unused:UNUSED_PAD src0_sel:WORD_1 src1_sel:DWORD
	v_cndmask_b32_e64 v0, 0, 1, vcc
	v_fma_f16 v2, v111, v13, -v2
	v_or_b32_e32 v0, v10, v0
	v_add_u32_e32 v10, 0xfffffc10, v1
	v_cvt_f32_f16_e32 v2, v2
	v_lshl_or_b32 v1, v10, 12, v6
	v_cmp_gt_i32_e32 vcc, 1, v10
	v_cndmask_b32_e32 v0, v1, v0, vcc
	v_and_b32_e32 v1, 7, v0
	v_cmp_lt_i32_e32 vcc, 5, v1
	v_cmp_eq_u32_e64 s[0:1], 3, v1
	v_lshrrev_b32_e32 v4, 2, v0
	v_cvt_f64_f32_e32 v[0:1], v2
	s_or_b64 vcc, s[0:1], vcc
	v_addc_co_u32_e32 v2, vcc, 0, v4, vcc
	v_cmp_gt_i32_e32 vcc, 31, v10
	v_cndmask_b32_e32 v4, v16, v2, vcc
	v_mul_f64 v[1:2], v[0:1], s[8:9]
	v_cmp_ne_u32_e32 vcc, 0, v6
	v_cndmask_b32_e64 v0, 0, 1, vcc
	v_lshl_or_b32 v0, v0, 9, v16
	v_cmp_eq_u32_e32 vcc, s10, v10
	v_cndmask_b32_e32 v0, v4, v0, vcc
	v_lshrrev_b32_e32 v4, 16, v7
	v_and_or_b32 v4, v4, s11, v0
	v_and_or_b32 v0, v2, s6, v1
	v_cmp_ne_u32_e32 vcc, 0, v0
	v_cndmask_b32_e64 v0, 0, 1, vcc
	v_lshrrev_b32_e32 v1, 8, v2
	v_bfe_u32 v6, v2, 20, 11
	v_and_or_b32 v0, v1, s7, v0
	v_sub_u32_e32 v7, 0x3f1, v6
	v_or_b32_e32 v1, 0x1000, v0
	v_med3_i32 v7, v7, 0, 13
	v_lshrrev_b32_e32 v10, v7, v1
	v_lshlrev_b32_e32 v7, v7, v10
	v_cmp_ne_u32_e32 vcc, v7, v1
	v_cndmask_b32_e64 v1, 0, 1, vcc
	v_add_u32_e32 v6, 0xfffffc10, v6
	v_or_b32_e32 v1, v10, v1
	v_lshl_or_b32 v7, v6, 12, v0
	v_cmp_gt_i32_e32 vcc, 1, v6
	v_cndmask_b32_e32 v1, v7, v1, vcc
	v_and_b32_e32 v7, 7, v1
	v_cmp_lt_i32_e32 vcc, 5, v7
	v_cmp_eq_u32_e64 s[0:1], 3, v7
	v_lshrrev_b32_e32 v1, 2, v1
	s_or_b64 vcc, s[0:1], vcc
	v_addc_co_u32_e32 v1, vcc, 0, v1, vcc
	v_cmp_gt_i32_e32 vcc, 31, v6
	v_cndmask_b32_e32 v7, v16, v1, vcc
	v_cmp_ne_u32_e32 vcc, 0, v0
	ds_read2_b32 v[0:1], v92 offset0:80 offset1:96
	v_cndmask_b32_e64 v10, 0, 1, vcc
	v_lshl_or_b32 v10, v10, 9, v16
	v_cmp_eq_u32_e32 vcc, s10, v6
	v_cndmask_b32_e32 v6, v7, v10, vcc
	s_waitcnt lgkmcnt(0)
	v_lshrrev_b32_e32 v10, 16, v1
	v_mul_f16_sdwa v7, v108, v10 dst_sel:DWORD dst_unused:UNUSED_PAD src0_sel:WORD_1 src1_sel:DWORD
	v_fma_f16 v7, v108, v1, v7
	v_cvt_f32_f16_e32 v7, v7
	v_lshrrev_b32_e32 v2, 16, v2
	v_and_or_b32 v2, v2, s11, v6
	s_mul_i32 s0, s5, 0xc0
	v_cvt_f64_f32_e32 v[6:7], v7
	v_and_b32_e32 v4, 0xffff, v4
	s_add_i32 s2, s2, s0
	s_mul_i32 s3, s4, 0xc0
	v_mul_f64 v[6:7], v[6:7], s[8:9]
	v_lshl_or_b32 v2, v2, 16, v4
	v_mov_b32_e32 v4, s2
	v_add_co_u32_e32 v8, vcc, s3, v8
	v_addc_co_u32_e32 v9, vcc, v9, v4, vcc
	global_store_dword v[8:9], v2, off
	v_and_or_b32 v2, v7, s6, v6
	v_cmp_ne_u32_e32 vcc, 0, v2
	v_cndmask_b32_e64 v2, 0, 1, vcc
	v_lshrrev_b32_e32 v4, 8, v7
	v_bfe_u32 v6, v7, 20, 11
	v_and_or_b32 v4, v4, s7, v2
	v_sub_u32_e32 v11, 0x3f1, v6
	v_or_b32_e32 v2, 0x1000, v4
	v_med3_i32 v11, v11, 0, 13
	v_lshrrev_b32_e32 v12, v11, v2
	v_mul_f16_sdwa v1, v108, v1 dst_sel:DWORD dst_unused:UNUSED_PAD src0_sel:WORD_1 src1_sel:DWORD
	v_lshlrev_b32_e32 v11, v11, v12
	v_fma_f16 v1, v108, v10, -v1
	v_cmp_ne_u32_e32 vcc, v11, v2
	v_cvt_f32_f16_e32 v1, v1
	v_cndmask_b32_e64 v2, 0, 1, vcc
	v_add_u32_e32 v6, 0xfffffc10, v6
	v_or_b32_e32 v2, v12, v2
	v_lshl_or_b32 v11, v6, 12, v4
	v_cmp_gt_i32_e32 vcc, 1, v6
	v_cndmask_b32_e32 v2, v11, v2, vcc
	v_and_b32_e32 v11, 7, v2
	v_lshrrev_b32_e32 v10, 2, v2
	v_cvt_f64_f32_e32 v[1:2], v1
	v_cmp_lt_i32_e32 vcc, 5, v11
	v_cmp_eq_u32_e64 s[0:1], 3, v11
	s_or_b64 vcc, s[0:1], vcc
	v_mul_f64 v[1:2], v[1:2], s[8:9]
	v_addc_co_u32_e32 v10, vcc, 0, v10, vcc
	v_cmp_gt_i32_e32 vcc, 31, v6
	v_cndmask_b32_e32 v10, v16, v10, vcc
	v_cmp_ne_u32_e32 vcc, 0, v4
	v_cndmask_b32_e64 v4, 0, 1, vcc
	v_lshl_or_b32 v4, v4, 9, v16
	v_cmp_eq_u32_e32 vcc, s10, v6
	v_and_or_b32 v1, v2, s6, v1
	v_cndmask_b32_e32 v4, v10, v4, vcc
	v_lshrrev_b32_e32 v6, 16, v7
	v_cmp_ne_u32_e32 vcc, 0, v1
	v_and_or_b32 v4, v6, s11, v4
	v_cndmask_b32_e64 v1, 0, 1, vcc
	v_lshrrev_b32_e32 v6, 8, v2
	v_bfe_u32 v7, v2, 20, 11
	v_and_or_b32 v1, v6, s7, v1
	v_sub_u32_e32 v10, 0x3f1, v7
	v_or_b32_e32 v6, 0x1000, v1
	v_med3_i32 v10, v10, 0, 13
	v_lshrrev_b32_e32 v11, v10, v6
	v_lshlrev_b32_e32 v10, v10, v11
	v_cmp_ne_u32_e32 vcc, v10, v6
	v_cndmask_b32_e64 v6, 0, 1, vcc
	v_add_u32_e32 v10, 0xfffffc10, v7
	v_or_b32_e32 v6, v11, v6
	v_lshl_or_b32 v7, v10, 12, v1
	v_cmp_gt_i32_e32 vcc, 1, v10
	v_cndmask_b32_e32 v6, v7, v6, vcc
	v_and_b32_e32 v7, 7, v6
	v_cmp_lt_i32_e32 vcc, 5, v7
	v_cmp_eq_u32_e64 s[0:1], 3, v7
	v_lshrrev_b32_e32 v6, 2, v6
	s_or_b64 vcc, s[0:1], vcc
	v_addc_co_u32_e32 v11, vcc, 0, v6, vcc
	ds_read2_b32 v[6:7], v92 offset0:144 offset1:160
	v_cmp_gt_i32_e32 vcc, 31, v10
	v_cndmask_b32_e32 v11, v16, v11, vcc
	v_cmp_ne_u32_e32 vcc, 0, v1
	v_cndmask_b32_e64 v1, 0, 1, vcc
	s_waitcnt lgkmcnt(0)
	v_lshrrev_b32_e32 v12, 16, v6
	v_mul_f16_sdwa v13, v107, v12 dst_sel:DWORD dst_unused:UNUSED_PAD src0_sel:WORD_1 src1_sel:DWORD
	v_fma_f16 v13, v107, v6, v13
	v_cvt_f32_f16_e32 v13, v13
	v_lshl_or_b32 v1, v1, 9, v16
	v_cmp_eq_u32_e32 vcc, s10, v10
	v_cndmask_b32_e32 v1, v11, v1, vcc
	v_cvt_f64_f32_e32 v[10:11], v13
	v_lshrrev_b32_e32 v2, 16, v2
	v_and_or_b32 v13, v2, s11, v1
	v_add_co_u32_e32 v8, vcc, s3, v8
	v_mul_f64 v[1:2], v[10:11], s[8:9]
	v_mov_b32_e32 v10, s2
	v_and_b32_e32 v4, 0xffff, v4
	v_addc_co_u32_e32 v9, vcc, v9, v10, vcc
	v_lshl_or_b32 v4, v13, 16, v4
	global_store_dword v[8:9], v4, off
	v_mul_f16_sdwa v6, v107, v6 dst_sel:DWORD dst_unused:UNUSED_PAD src0_sel:WORD_1 src1_sel:DWORD
	v_and_or_b32 v1, v2, s6, v1
	v_cmp_ne_u32_e32 vcc, 0, v1
	v_cndmask_b32_e64 v1, 0, 1, vcc
	v_lshrrev_b32_e32 v4, 8, v2
	v_bfe_u32 v10, v2, 20, 11
	v_and_or_b32 v1, v4, s7, v1
	v_sub_u32_e32 v11, 0x3f1, v10
	v_or_b32_e32 v4, 0x1000, v1
	v_med3_i32 v11, v11, 0, 13
	v_lshrrev_b32_e32 v13, v11, v4
	v_lshlrev_b32_e32 v11, v11, v13
	v_cmp_ne_u32_e32 vcc, v11, v4
	v_cndmask_b32_e64 v4, 0, 1, vcc
	v_fma_f16 v6, v107, v12, -v6
	v_or_b32_e32 v4, v13, v4
	v_add_u32_e32 v13, 0xfffffc10, v10
	v_cvt_f32_f16_e32 v6, v6
	v_lshl_or_b32 v10, v13, 12, v1
	v_cmp_gt_i32_e32 vcc, 1, v13
	v_cndmask_b32_e32 v4, v10, v4, vcc
	v_and_b32_e32 v10, 7, v4
	v_cmp_lt_i32_e32 vcc, 5, v10
	v_cmp_eq_u32_e64 s[0:1], 3, v10
	v_cvt_f64_f32_e32 v[10:11], v6
	v_lshrrev_b32_e32 v4, 2, v4
	s_or_b64 vcc, s[0:1], vcc
	v_addc_co_u32_e32 v4, vcc, 0, v4, vcc
	v_mul_f64 v[10:11], v[10:11], s[8:9]
	v_cmp_gt_i32_e32 vcc, 31, v13
	v_cndmask_b32_e32 v4, v16, v4, vcc
	v_cmp_ne_u32_e32 vcc, 0, v1
	v_cndmask_b32_e64 v1, 0, 1, vcc
	v_lshl_or_b32 v1, v1, 9, v16
	v_cmp_eq_u32_e32 vcc, s10, v13
	v_cndmask_b32_e32 v1, v4, v1, vcc
	v_lshrrev_b32_e32 v2, 16, v2
	v_and_or_b32 v4, v2, s11, v1
	v_and_or_b32 v1, v11, s6, v10
	v_cmp_ne_u32_e32 vcc, 0, v1
	v_cndmask_b32_e64 v1, 0, 1, vcc
	v_lshrrev_b32_e32 v2, 8, v11
	v_and_or_b32 v6, v2, s7, v1
	v_bfe_u32 v2, v11, 20, 11
	v_sub_u32_e32 v10, 0x3f1, v2
	v_or_b32_e32 v1, 0x1000, v6
	v_med3_i32 v10, v10, 0, 13
	v_lshrrev_b32_e32 v12, v10, v1
	v_lshlrev_b32_e32 v10, v10, v12
	v_cmp_ne_u32_e32 vcc, v10, v1
	v_cndmask_b32_e64 v1, 0, 1, vcc
	v_add_u32_e32 v10, 0xfffffc10, v2
	v_or_b32_e32 v1, v12, v1
	v_lshl_or_b32 v2, v10, 12, v6
	v_cmp_gt_i32_e32 vcc, 1, v10
	v_cndmask_b32_e32 v1, v2, v1, vcc
	v_and_b32_e32 v2, 7, v1
	v_cmp_lt_i32_e32 vcc, 5, v2
	v_cmp_eq_u32_e64 s[0:1], 3, v2
	v_lshrrev_b32_e32 v1, 2, v1
	s_or_b64 vcc, s[0:1], vcc
	v_addc_co_u32_e32 v12, vcc, 0, v1, vcc
	ds_read2_b32 v[1:2], v92 offset0:176 offset1:192
	v_cmp_gt_i32_e32 vcc, 31, v10
	v_cndmask_b32_e32 v12, v16, v12, vcc
	v_cmp_ne_u32_e32 vcc, 0, v6
	v_cndmask_b32_e64 v6, 0, 1, vcc
	s_waitcnt lgkmcnt(0)
	v_lshrrev_b32_e32 v14, 16, v2
	v_mul_f16_sdwa v13, v105, v14 dst_sel:DWORD dst_unused:UNUSED_PAD src0_sel:WORD_1 src1_sel:DWORD
	v_fma_f16 v13, v105, v2, v13
	v_cvt_f32_f16_e32 v13, v13
	v_lshl_or_b32 v6, v6, 9, v16
	v_cmp_eq_u32_e32 vcc, s10, v10
	v_cndmask_b32_e32 v6, v12, v6, vcc
	v_cvt_f64_f32_e32 v[12:13], v13
	v_lshrrev_b32_e32 v10, 16, v11
	v_and_or_b32 v6, v10, s11, v6
	v_and_b32_e32 v4, 0xffff, v4
	v_mul_f64 v[10:11], v[12:13], s[8:9]
	v_lshl_or_b32 v4, v6, 16, v4
	v_mov_b32_e32 v6, s2
	v_add_co_u32_e32 v12, vcc, s3, v8
	v_addc_co_u32_e32 v13, vcc, v9, v6, vcc
	global_store_dword v[12:13], v4, off
	v_and_or_b32 v4, v11, s6, v10
	v_cmp_ne_u32_e32 vcc, 0, v4
	v_cndmask_b32_e64 v4, 0, 1, vcc
	v_lshrrev_b32_e32 v6, 8, v11
	v_bfe_u32 v8, v11, 20, 11
	v_and_or_b32 v4, v6, s7, v4
	v_sub_u32_e32 v9, 0x3f1, v8
	v_or_b32_e32 v6, 0x1000, v4
	v_med3_i32 v9, v9, 0, 13
	v_lshrrev_b32_e32 v10, v9, v6
	v_lshlrev_b32_e32 v9, v9, v10
	v_mul_f16_sdwa v2, v105, v2 dst_sel:DWORD dst_unused:UNUSED_PAD src0_sel:WORD_1 src1_sel:DWORD
	v_cmp_ne_u32_e32 vcc, v9, v6
	v_fma_f16 v2, v105, v14, -v2
	v_cndmask_b32_e64 v6, 0, 1, vcc
	v_add_u32_e32 v15, 0xfffffc10, v8
	v_cvt_f32_f16_e32 v2, v2
	v_or_b32_e32 v6, v10, v6
	v_lshl_or_b32 v8, v15, 12, v4
	v_cmp_gt_i32_e32 vcc, 1, v15
	v_cndmask_b32_e32 v6, v8, v6, vcc
	v_and_b32_e32 v8, 7, v6
	v_cmp_lt_i32_e32 vcc, 5, v8
	v_cmp_eq_u32_e64 s[0:1], 3, v8
	v_cvt_f64_f32_e32 v[8:9], v2
	v_lshrrev_b32_e32 v6, 2, v6
	s_or_b64 vcc, s[0:1], vcc
	v_addc_co_u32_e32 v2, vcc, 0, v6, vcc
	v_mul_f64 v[9:10], v[8:9], s[8:9]
	v_cmp_gt_i32_e32 vcc, 31, v15
	v_cndmask_b32_e32 v2, v16, v2, vcc
	v_cmp_ne_u32_e32 vcc, 0, v4
	v_cndmask_b32_e64 v4, 0, 1, vcc
	v_lshl_or_b32 v4, v4, 9, v16
	v_cmp_eq_u32_e32 vcc, s10, v15
	v_cndmask_b32_e32 v2, v2, v4, vcc
	v_lshrrev_b32_e32 v4, 16, v11
	v_and_or_b32 v4, v4, s11, v2
	v_and_or_b32 v2, v10, s6, v9
	v_cmp_ne_u32_e32 vcc, 0, v2
	v_cndmask_b32_e64 v2, 0, 1, vcc
	v_lshrrev_b32_e32 v6, 8, v10
	v_bfe_u32 v8, v10, 20, 11
	v_and_or_b32 v2, v6, s7, v2
	v_sub_u32_e32 v9, 0x3f1, v8
	v_or_b32_e32 v6, 0x1000, v2
	v_med3_i32 v9, v9, 0, 13
	v_lshrrev_b32_e32 v11, v9, v6
	v_lshlrev_b32_e32 v9, v9, v11
	v_cmp_ne_u32_e32 vcc, v9, v6
	v_cndmask_b32_e64 v6, 0, 1, vcc
	v_or_b32_e32 v6, v11, v6
	v_add_u32_e32 v11, 0xfffffc10, v8
	v_lshl_or_b32 v8, v11, 12, v2
	v_cmp_gt_i32_e32 vcc, 1, v11
	v_cndmask_b32_e32 v6, v8, v6, vcc
	v_and_b32_e32 v8, 7, v6
	v_cmp_lt_i32_e32 vcc, 5, v8
	v_cmp_eq_u32_e64 s[0:1], 3, v8
	ds_read2_b32 v[8:9], v3 offset0:112 offset1:128
	v_lshrrev_b32_e32 v6, 2, v6
	s_or_b64 vcc, s[0:1], vcc
	v_addc_co_u32_e32 v6, vcc, 0, v6, vcc
	v_cmp_gt_i32_e32 vcc, 31, v11
	v_cndmask_b32_e32 v3, v16, v6, vcc
	s_waitcnt lgkmcnt(0)
	v_lshrrev_b32_e32 v6, 16, v8
	v_mul_f16_sdwa v14, v103, v6 dst_sel:DWORD dst_unused:UNUSED_PAD src0_sel:WORD_1 src1_sel:DWORD
	v_fma_f16 v14, v103, v8, v14
	v_cvt_f32_f16_e32 v14, v14
	v_cmp_ne_u32_e32 vcc, 0, v2
	v_cndmask_b32_e64 v2, 0, 1, vcc
	v_lshl_or_b32 v2, v2, 9, v16
	v_cmp_eq_u32_e32 vcc, s10, v11
	v_cndmask_b32_e32 v11, v3, v2, vcc
	v_cvt_f64_f32_e32 v[2:3], v14
	v_lshrrev_b32_e32 v10, 16, v10
	v_and_or_b32 v10, v10, s11, v11
	v_and_b32_e32 v4, 0xffff, v4
	v_mul_f64 v[2:3], v[2:3], s[8:9]
	v_lshl_or_b32 v4, v10, 16, v4
	v_mov_b32_e32 v11, s2
	v_add_co_u32_e32 v10, vcc, s3, v12
	v_addc_co_u32_e32 v11, vcc, v13, v11, vcc
	global_store_dword v[10:11], v4, off
	v_and_or_b32 v2, v3, s6, v2
	v_cmp_ne_u32_e32 vcc, 0, v2
	v_cndmask_b32_e64 v2, 0, 1, vcc
	v_lshrrev_b32_e32 v4, 8, v3
	v_bfe_u32 v12, v3, 20, 11
	v_and_or_b32 v2, v4, s7, v2
	v_sub_u32_e32 v13, 0x3f1, v12
	v_or_b32_e32 v4, 0x1000, v2
	v_med3_i32 v13, v13, 0, 13
	v_lshrrev_b32_e32 v14, v13, v4
	v_lshlrev_b32_e32 v13, v13, v14
	v_cmp_ne_u32_e32 vcc, v13, v4
	v_mul_f16_sdwa v8, v103, v8 dst_sel:DWORD dst_unused:UNUSED_PAD src0_sel:WORD_1 src1_sel:DWORD
	v_cndmask_b32_e64 v4, 0, 1, vcc
	v_fma_f16 v6, v103, v6, -v8
	v_or_b32_e32 v4, v14, v4
	v_add_u32_e32 v14, 0xfffffc10, v12
	v_cvt_f32_f16_e32 v6, v6
	v_lshl_or_b32 v12, v14, 12, v2
	v_cmp_gt_i32_e32 vcc, 1, v14
	v_cndmask_b32_e32 v4, v12, v4, vcc
	v_and_b32_e32 v12, 7, v4
	v_cmp_lt_i32_e32 vcc, 5, v12
	v_cmp_eq_u32_e64 s[0:1], 3, v12
	v_cvt_f64_f32_e32 v[12:13], v6
	v_lshrrev_b32_e32 v4, 2, v4
	s_or_b64 vcc, s[0:1], vcc
	v_addc_co_u32_e32 v4, vcc, 0, v4, vcc
	v_mul_f64 v[12:13], v[12:13], s[8:9]
	v_cmp_gt_i32_e32 vcc, 31, v14
	v_cndmask_b32_e32 v4, v16, v4, vcc
	v_cmp_ne_u32_e32 vcc, 0, v2
	v_cndmask_b32_e64 v2, 0, 1, vcc
	v_lshl_or_b32 v2, v2, 9, v16
	v_cmp_eq_u32_e32 vcc, s10, v14
	v_cndmask_b32_e32 v2, v4, v2, vcc
	v_lshrrev_b32_e32 v3, 16, v3
	v_and_or_b32 v4, v3, s11, v2
	v_and_or_b32 v2, v13, s6, v12
	v_cmp_ne_u32_e32 vcc, 0, v2
	v_cndmask_b32_e64 v2, 0, 1, vcc
	v_lshrrev_b32_e32 v3, 8, v13
	v_and_or_b32 v6, v3, s7, v2
	v_bfe_u32 v3, v13, 20, 11
	v_sub_u32_e32 v8, 0x3f1, v3
	v_or_b32_e32 v2, 0x1000, v6
	v_med3_i32 v8, v8, 0, 13
	v_lshrrev_b32_e32 v12, v8, v2
	v_lshlrev_b32_e32 v8, v8, v12
	v_cmp_ne_u32_e32 vcc, v8, v2
	v_cndmask_b32_e64 v2, 0, 1, vcc
	v_add_u32_e32 v8, 0xfffffc10, v3
	v_or_b32_e32 v2, v12, v2
	v_lshl_or_b32 v3, v8, 12, v6
	v_cmp_gt_i32_e32 vcc, 1, v8
	v_cndmask_b32_e32 v2, v3, v2, vcc
	v_and_b32_e32 v3, 7, v2
	v_cmp_lt_i32_e32 vcc, 5, v3
	v_cmp_eq_u32_e64 s[0:1], 3, v3
	v_lshrrev_b32_e32 v2, 2, v2
	s_or_b64 vcc, s[0:1], vcc
	v_addc_co_u32_e32 v12, vcc, 0, v2, vcc
	ds_read2_b32 v[2:3], v36 offset0:16 offset1:32
	v_cmp_gt_i32_e32 vcc, 31, v8
	v_cndmask_b32_e32 v12, v16, v12, vcc
	v_cmp_ne_u32_e32 vcc, 0, v6
	v_cndmask_b32_e64 v6, 0, 1, vcc
	s_waitcnt lgkmcnt(0)
	v_lshrrev_b32_e32 v18, 16, v3
	v_mul_f16_sdwa v14, v109, v18 dst_sel:DWORD dst_unused:UNUSED_PAD src0_sel:WORD_1 src1_sel:DWORD
	v_fma_f16 v14, v109, v3, v14
	v_cvt_f32_f16_e32 v14, v14
	v_lshl_or_b32 v6, v6, 9, v16
	v_cmp_eq_u32_e32 vcc, s10, v8
	v_cndmask_b32_e32 v6, v12, v6, vcc
	v_cvt_f64_f32_e32 v[14:15], v14
	v_lshrrev_b32_e32 v8, 16, v13
	v_and_or_b32 v6, v8, s11, v6
	v_and_b32_e32 v4, 0xffff, v4
	v_mul_f64 v[12:13], v[14:15], s[8:9]
	v_lshl_or_b32 v4, v6, 16, v4
	v_mov_b32_e32 v6, s2
	v_add_co_u32_e32 v14, vcc, s3, v10
	v_addc_co_u32_e32 v15, vcc, v11, v6, vcc
	global_store_dword v[14:15], v4, off
	v_and_or_b32 v4, v13, s6, v12
	v_cmp_ne_u32_e32 vcc, 0, v4
	v_cndmask_b32_e64 v4, 0, 1, vcc
	v_lshrrev_b32_e32 v6, 8, v13
	v_bfe_u32 v8, v13, 20, 11
	v_and_or_b32 v6, v6, s7, v4
	v_sub_u32_e32 v10, 0x3f1, v8
	v_or_b32_e32 v4, 0x1000, v6
	v_med3_i32 v10, v10, 0, 13
	v_lshrrev_b32_e32 v11, v10, v4
	v_lshlrev_b32_e32 v10, v10, v11
	v_mul_f16_sdwa v3, v109, v3 dst_sel:DWORD dst_unused:UNUSED_PAD src0_sel:WORD_1 src1_sel:DWORD
	v_cmp_ne_u32_e32 vcc, v10, v4
	v_fma_f16 v3, v109, v18, -v3
	v_cndmask_b32_e64 v4, 0, 1, vcc
	v_add_u32_e32 v8, 0xfffffc10, v8
	v_cvt_f32_f16_e32 v3, v3
	v_or_b32_e32 v4, v11, v4
	v_lshl_or_b32 v10, v8, 12, v6
	v_cmp_gt_i32_e32 vcc, 1, v8
	v_cndmask_b32_e32 v4, v10, v4, vcc
	v_and_b32_e32 v10, 7, v4
	v_cmp_lt_i32_e32 vcc, 5, v10
	v_cmp_eq_u32_e64 s[0:1], 3, v10
	v_lshrrev_b32_e32 v10, 2, v4
	v_cvt_f64_f32_e32 v[3:4], v3
	s_or_b64 vcc, s[0:1], vcc
	v_addc_co_u32_e32 v10, vcc, 0, v10, vcc
	v_mul_f64 v[3:4], v[3:4], s[8:9]
	v_cmp_gt_i32_e32 vcc, 31, v8
	v_cndmask_b32_e32 v10, v16, v10, vcc
	v_cmp_ne_u32_e32 vcc, 0, v6
	v_cndmask_b32_e64 v6, 0, 1, vcc
	v_lshl_or_b32 v6, v6, 9, v16
	v_cmp_eq_u32_e32 vcc, s10, v8
	v_cndmask_b32_e32 v6, v10, v6, vcc
	v_and_or_b32 v3, v4, s6, v3
	v_lshrrev_b32_e32 v8, 16, v13
	v_cmp_ne_u32_e32 vcc, 0, v3
	v_and_or_b32 v6, v8, s11, v6
	v_cndmask_b32_e64 v3, 0, 1, vcc
	v_lshrrev_b32_e32 v8, 8, v4
	v_bfe_u32 v10, v4, 20, 11
	v_and_or_b32 v3, v8, s7, v3
	v_sub_u32_e32 v11, 0x3f1, v10
	v_or_b32_e32 v8, 0x1000, v3
	v_med3_i32 v11, v11, 0, 13
	v_lshrrev_b32_e32 v12, v11, v8
	v_lshlrev_b32_e32 v11, v11, v12
	v_cmp_ne_u32_e32 vcc, v11, v8
	v_cndmask_b32_e64 v8, 0, 1, vcc
	v_or_b32_e32 v8, v12, v8
	v_add_u32_e32 v12, 0xfffffc10, v10
	v_lshl_or_b32 v10, v12, 12, v3
	v_cmp_gt_i32_e32 vcc, 1, v12
	v_cndmask_b32_e32 v8, v10, v8, vcc
	v_and_b32_e32 v10, 7, v8
	v_cmp_lt_i32_e32 vcc, 5, v10
	v_cmp_eq_u32_e64 s[0:1], 3, v10
	ds_read2_b32 v[10:11], v36 offset0:80 offset1:96
	v_lshrrev_b32_e32 v8, 2, v8
	s_or_b64 vcc, s[0:1], vcc
	v_addc_co_u32_e32 v8, vcc, 0, v8, vcc
	s_waitcnt lgkmcnt(0)
	v_lshrrev_b32_e32 v18, 16, v10
	v_mul_f16_sdwa v13, v106, v18 dst_sel:DWORD dst_unused:UNUSED_PAD src0_sel:WORD_1 src1_sel:DWORD
	v_fma_f16 v13, v106, v10, v13
	v_cvt_f32_f16_e32 v13, v13
	v_cmp_gt_i32_e32 vcc, 31, v12
	v_cndmask_b32_e32 v8, v16, v8, vcc
	v_cmp_ne_u32_e32 vcc, 0, v3
	v_cndmask_b32_e64 v3, 0, 1, vcc
	v_cmp_eq_u32_e32 vcc, s10, v12
	v_cvt_f64_f32_e32 v[12:13], v13
	v_lshl_or_b32 v3, v3, 9, v16
	v_cndmask_b32_e32 v3, v8, v3, vcc
	v_lshrrev_b32_e32 v4, 16, v4
	v_and_or_b32 v8, v4, s11, v3
	v_mul_f64 v[3:4], v[12:13], s[8:9]
	v_and_b32_e32 v6, 0xffff, v6
	v_lshl_or_b32 v6, v8, 16, v6
	v_mov_b32_e32 v8, s2
	v_add_co_u32_e32 v12, vcc, s3, v14
	v_addc_co_u32_e32 v13, vcc, v15, v8, vcc
	v_and_or_b32 v3, v4, s6, v3
	v_cmp_ne_u32_e32 vcc, 0, v3
	global_store_dword v[12:13], v6, off
	v_cndmask_b32_e64 v3, 0, 1, vcc
	v_lshrrev_b32_e32 v6, 8, v4
	v_bfe_u32 v8, v4, 20, 11
	v_and_or_b32 v3, v6, s7, v3
	v_sub_u32_e32 v14, 0x3f1, v8
	v_or_b32_e32 v6, 0x1000, v3
	v_med3_i32 v14, v14, 0, 13
	v_lshrrev_b32_e32 v15, v14, v6
	v_lshlrev_b32_e32 v14, v14, v15
	v_mul_f16_sdwa v10, v106, v10 dst_sel:DWORD dst_unused:UNUSED_PAD src0_sel:WORD_1 src1_sel:DWORD
	v_cmp_ne_u32_e32 vcc, v14, v6
	v_fma_f16 v10, v106, v18, -v10
	v_cndmask_b32_e64 v6, 0, 1, vcc
	v_add_u32_e32 v8, 0xfffffc10, v8
	v_cvt_f32_f16_e32 v10, v10
	v_or_b32_e32 v6, v15, v6
	v_lshl_or_b32 v14, v8, 12, v3
	v_cmp_gt_i32_e32 vcc, 1, v8
	v_cndmask_b32_e32 v6, v14, v6, vcc
	v_and_b32_e32 v14, 7, v6
	v_cmp_lt_i32_e32 vcc, 5, v14
	v_cmp_eq_u32_e64 s[0:1], 3, v14
	v_cvt_f64_f32_e32 v[14:15], v10
	v_lshrrev_b32_e32 v6, 2, v6
	s_or_b64 vcc, s[0:1], vcc
	v_addc_co_u32_e32 v6, vcc, 0, v6, vcc
	v_mul_f64 v[14:15], v[14:15], s[8:9]
	v_cmp_gt_i32_e32 vcc, 31, v8
	v_cndmask_b32_e32 v6, v16, v6, vcc
	v_cmp_ne_u32_e32 vcc, 0, v3
	v_cndmask_b32_e64 v3, 0, 1, vcc
	v_lshl_or_b32 v3, v3, 9, v16
	v_cmp_eq_u32_e32 vcc, s10, v8
	v_cndmask_b32_e32 v3, v6, v3, vcc
	v_lshrrev_b32_e32 v4, 16, v4
	v_and_or_b32 v6, v4, s11, v3
	v_and_or_b32 v3, v15, s6, v14
	v_cmp_ne_u32_e32 vcc, 0, v3
	v_cndmask_b32_e64 v3, 0, 1, vcc
	v_lshrrev_b32_e32 v4, 8, v15
	v_and_or_b32 v8, v4, s7, v3
	v_bfe_u32 v4, v15, 20, 11
	v_sub_u32_e32 v10, 0x3f1, v4
	v_or_b32_e32 v3, 0x1000, v8
	v_med3_i32 v10, v10, 0, 13
	v_lshrrev_b32_e32 v14, v10, v3
	v_lshlrev_b32_e32 v10, v10, v14
	v_cmp_ne_u32_e32 vcc, v10, v3
	v_cndmask_b32_e64 v3, 0, 1, vcc
	v_add_u32_e32 v10, 0xfffffc10, v4
	v_or_b32_e32 v3, v14, v3
	v_lshl_or_b32 v4, v10, 12, v8
	v_cmp_gt_i32_e32 vcc, 1, v10
	v_cndmask_b32_e32 v3, v4, v3, vcc
	v_and_b32_e32 v4, 7, v3
	v_cmp_lt_i32_e32 vcc, 5, v4
	v_cmp_eq_u32_e64 s[0:1], 3, v4
	v_lshrrev_b32_e32 v3, 2, v3
	s_or_b64 vcc, s[0:1], vcc
	v_addc_co_u32_e32 v14, vcc, 0, v3, vcc
	ds_read2_b32 v[3:4], v36 offset0:112 offset1:128
	v_cmp_gt_i32_e32 vcc, 31, v10
	v_cndmask_b32_e32 v14, v16, v14, vcc
	v_cmp_ne_u32_e32 vcc, 0, v8
	v_cndmask_b32_e64 v8, 0, 1, vcc
	s_waitcnt lgkmcnt(0)
	v_lshrrev_b32_e32 v20, 16, v4
	v_mul_f16_sdwa v18, v104, v20 dst_sel:DWORD dst_unused:UNUSED_PAD src0_sel:WORD_1 src1_sel:DWORD
	v_fma_f16 v18, v104, v4, v18
	v_cvt_f32_f16_e32 v18, v18
	v_lshl_or_b32 v8, v8, 9, v16
	v_cmp_eq_u32_e32 vcc, s10, v10
	v_cndmask_b32_e32 v8, v14, v8, vcc
	v_cvt_f64_f32_e32 v[18:19], v18
	v_lshrrev_b32_e32 v10, 16, v15
	v_and_or_b32 v8, v10, s11, v8
	v_and_b32_e32 v6, 0xffff, v6
	v_mul_f64 v[14:15], v[18:19], s[8:9]
	v_lshl_or_b32 v6, v8, 16, v6
	v_mov_b32_e32 v8, s2
	v_add_co_u32_e32 v18, vcc, s3, v12
	v_addc_co_u32_e32 v19, vcc, v13, v8, vcc
	global_store_dword v[18:19], v6, off
	v_and_or_b32 v6, v15, s6, v14
	v_cmp_ne_u32_e32 vcc, 0, v6
	v_cndmask_b32_e64 v6, 0, 1, vcc
	v_lshrrev_b32_e32 v8, 8, v15
	v_bfe_u32 v10, v15, 20, 11
	v_and_or_b32 v6, v8, s7, v6
	v_sub_u32_e32 v12, 0x3f1, v10
	v_or_b32_e32 v8, 0x1000, v6
	v_med3_i32 v12, v12, 0, 13
	v_lshrrev_b32_e32 v13, v12, v8
	v_lshlrev_b32_e32 v12, v12, v13
	v_mul_f16_sdwa v4, v104, v4 dst_sel:DWORD dst_unused:UNUSED_PAD src0_sel:WORD_1 src1_sel:DWORD
	v_cmp_ne_u32_e32 vcc, v12, v8
	v_fma_f16 v4, v104, v20, -v4
	v_cndmask_b32_e64 v8, 0, 1, vcc
	v_add_u32_e32 v10, 0xfffffc10, v10
	v_cvt_f32_f16_e32 v4, v4
	v_or_b32_e32 v8, v13, v8
	v_lshl_or_b32 v12, v10, 12, v6
	v_cmp_gt_i32_e32 vcc, 1, v10
	v_cndmask_b32_e32 v8, v12, v8, vcc
	v_and_b32_e32 v12, 7, v8
	v_cmp_lt_i32_e32 vcc, 5, v12
	v_cmp_eq_u32_e64 s[0:1], 3, v12
	v_cvt_f64_f32_e32 v[12:13], v4
	v_lshrrev_b32_e32 v8, 2, v8
	s_or_b64 vcc, s[0:1], vcc
	v_addc_co_u32_e32 v4, vcc, 0, v8, vcc
	v_mul_f64 v[13:14], v[12:13], s[8:9]
	v_cmp_gt_i32_e32 vcc, 31, v10
	v_cndmask_b32_e32 v4, v16, v4, vcc
	v_cmp_ne_u32_e32 vcc, 0, v6
	v_cndmask_b32_e64 v6, 0, 1, vcc
	v_lshl_or_b32 v6, v6, 9, v16
	v_cmp_eq_u32_e32 vcc, s10, v10
	v_cndmask_b32_e32 v4, v4, v6, vcc
	v_lshrrev_b32_e32 v6, 16, v15
	v_and_or_b32 v4, v6, s11, v4
	v_and_or_b32 v6, v14, s6, v13
	v_cmp_ne_u32_e32 vcc, 0, v6
	v_cndmask_b32_e64 v6, 0, 1, vcc
	v_lshrrev_b32_e32 v8, 8, v14
	v_bfe_u32 v10, v14, 20, 11
	v_and_or_b32 v6, v8, s7, v6
	v_sub_u32_e32 v12, 0x3f1, v10
	v_or_b32_e32 v8, 0x1000, v6
	v_med3_i32 v12, v12, 0, 13
	v_lshrrev_b32_e32 v13, v12, v8
	v_lshlrev_b32_e32 v12, v12, v13
	v_cmp_ne_u32_e32 vcc, v12, v8
	v_cndmask_b32_e64 v8, 0, 1, vcc
	v_add_u32_e32 v10, 0xfffffc10, v10
	v_or_b32_e32 v8, v13, v8
	v_lshl_or_b32 v12, v10, 12, v6
	v_cmp_gt_i32_e32 vcc, 1, v10
	v_cndmask_b32_e32 v8, v12, v8, vcc
	v_and_b32_e32 v12, 7, v8
	v_cmp_lt_i32_e32 vcc, 5, v12
	v_cmp_eq_u32_e64 s[0:1], 3, v12
	ds_read2_b32 v[12:13], v36 offset0:176 offset1:192
	v_lshrrev_b32_e32 v8, 2, v8
	s_or_b64 vcc, s[0:1], vcc
	v_addc_co_u32_e32 v8, vcc, 0, v8, vcc
	s_waitcnt lgkmcnt(0)
	v_lshrrev_b32_e32 v22, 16, v12
	v_mul_f16_sdwa v15, v102, v22 dst_sel:DWORD dst_unused:UNUSED_PAD src0_sel:WORD_1 src1_sel:DWORD
	v_fma_f16 v15, v102, v12, v15
	v_cvt_f32_f16_e32 v15, v15
	v_cmp_gt_i32_e32 vcc, 31, v10
	v_cndmask_b32_e32 v8, v16, v8, vcc
	v_cmp_ne_u32_e32 vcc, 0, v6
	v_cvt_f64_f32_e32 v[20:21], v15
	v_cndmask_b32_e64 v6, 0, 1, vcc
	v_lshl_or_b32 v6, v6, 9, v16
	v_cmp_eq_u32_e32 vcc, s10, v10
	v_cndmask_b32_e32 v6, v8, v6, vcc
	v_lshrrev_b32_e32 v8, 16, v14
	v_mul_f64 v[14:15], v[20:21], s[8:9]
	v_and_or_b32 v6, v8, s11, v6
	v_and_b32_e32 v4, 0xffff, v4
	v_lshl_or_b32 v4, v6, 16, v4
	v_mov_b32_e32 v6, s2
	v_add_co_u32_e32 v18, vcc, s3, v18
	v_addc_co_u32_e32 v19, vcc, v19, v6, vcc
	global_store_dword v[18:19], v4, off
	v_and_or_b32 v4, v15, s6, v14
	v_cmp_ne_u32_e32 vcc, 0, v4
	v_cndmask_b32_e64 v4, 0, 1, vcc
	v_lshrrev_b32_e32 v6, 8, v15
	v_bfe_u32 v8, v15, 20, 11
	v_mul_f16_sdwa v12, v102, v12 dst_sel:DWORD dst_unused:UNUSED_PAD src0_sel:WORD_1 src1_sel:DWORD
	v_and_or_b32 v4, v6, s7, v4
	v_sub_u32_e32 v10, 0x3f1, v8
	v_fma_f16 v12, v102, v22, -v12
	v_or_b32_e32 v6, 0x1000, v4
	v_med3_i32 v10, v10, 0, 13
	v_cvt_f32_f16_e32 v12, v12
	v_lshrrev_b32_e32 v14, v10, v6
	v_lshlrev_b32_e32 v10, v10, v14
	v_cmp_ne_u32_e32 vcc, v10, v6
	v_cndmask_b32_e64 v6, 0, 1, vcc
	v_add_u32_e32 v8, 0xfffffc10, v8
	v_cvt_f64_f32_e32 v[20:21], v12
	v_or_b32_e32 v6, v14, v6
	v_lshl_or_b32 v10, v8, 12, v4
	v_cmp_gt_i32_e32 vcc, 1, v8
	v_cndmask_b32_e32 v6, v10, v6, vcc
	v_and_b32_e32 v10, 7, v6
	v_cmp_lt_i32_e32 vcc, 5, v10
	v_cmp_eq_u32_e64 s[0:1], 3, v10
	v_mul_f64 v[20:21], v[20:21], s[8:9]
	v_lshrrev_b32_e32 v6, 2, v6
	s_or_b64 vcc, s[0:1], vcc
	v_addc_co_u32_e32 v6, vcc, 0, v6, vcc
	v_cmp_gt_i32_e32 vcc, 31, v8
	v_cndmask_b32_e32 v6, v16, v6, vcc
	v_cmp_ne_u32_e32 vcc, 0, v4
	v_cndmask_b32_e64 v4, 0, 1, vcc
	v_lshl_or_b32 v4, v4, 9, v16
	v_cmp_eq_u32_e32 vcc, s10, v8
	v_cndmask_b32_e32 v4, v6, v4, vcc
	v_lshrrev_b32_e32 v6, 16, v15
	v_and_or_b32 v4, v6, s11, v4
	v_and_or_b32 v6, v21, s6, v20
	v_cmp_ne_u32_e32 vcc, 0, v6
	v_cndmask_b32_e64 v6, 0, 1, vcc
	v_lshrrev_b32_e32 v8, 8, v21
	v_bfe_u32 v10, v21, 20, 11
	v_and_or_b32 v6, v8, s7, v6
	v_sub_u32_e32 v12, 0x3f1, v10
	v_or_b32_e32 v8, 0x1000, v6
	v_med3_i32 v12, v12, 0, 13
	v_lshrrev_b32_e32 v14, v12, v8
	v_lshlrev_b32_e32 v12, v12, v14
	v_cmp_ne_u32_e32 vcc, v12, v8
	v_cndmask_b32_e64 v8, 0, 1, vcc
	v_or_b32_e32 v8, v14, v8
	ds_read2_b32 v[14:15], v92 offset0:16 offset1:32
	v_add_u32_e32 v10, 0xfffffc10, v10
	v_lshl_or_b32 v12, v10, 12, v6
	v_cmp_gt_i32_e32 vcc, 1, v10
	v_cndmask_b32_e32 v8, v12, v8, vcc
	v_and_b32_e32 v12, 7, v8
	v_cmp_lt_i32_e32 vcc, 5, v12
	v_cmp_eq_u32_e64 s[0:1], 3, v12
	s_waitcnt lgkmcnt(0)
	v_lshrrev_b32_e32 v12, 16, v14
	v_mul_f16_sdwa v20, v101, v12 dst_sel:DWORD dst_unused:UNUSED_PAD src0_sel:WORD_1 src1_sel:DWORD
	v_fma_f16 v20, v101, v14, v20
	v_cvt_f32_f16_e32 v20, v20
	v_lshrrev_b32_e32 v8, 2, v8
	s_or_b64 vcc, s[0:1], vcc
	v_addc_co_u32_e32 v8, vcc, 0, v8, vcc
	v_cmp_gt_i32_e32 vcc, 31, v10
	v_cvt_f64_f32_e32 v[22:23], v20
	v_cndmask_b32_e32 v8, v16, v8, vcc
	v_cmp_ne_u32_e32 vcc, 0, v6
	v_cndmask_b32_e64 v6, 0, 1, vcc
	v_lshl_or_b32 v6, v6, 9, v16
	v_cmp_eq_u32_e32 vcc, s10, v10
	v_cndmask_b32_e32 v6, v8, v6, vcc
	v_lshrrev_b32_e32 v8, 16, v21
	v_mul_f64 v[20:21], v[22:23], s[8:9]
	v_and_or_b32 v6, v8, s11, v6
	v_and_b32_e32 v4, 0xffff, v4
	v_lshl_or_b32 v4, v6, 16, v4
	v_mov_b32_e32 v6, s2
	v_add_co_u32_e32 v18, vcc, s3, v18
	v_addc_co_u32_e32 v19, vcc, v19, v6, vcc
	global_store_dword v[18:19], v4, off
	v_and_or_b32 v4, v21, s6, v20
	v_cmp_ne_u32_e32 vcc, 0, v4
	v_cndmask_b32_e64 v4, 0, 1, vcc
	v_lshrrev_b32_e32 v6, 8, v21
	v_bfe_u32 v8, v21, 20, 11
	v_mul_f16_sdwa v14, v101, v14 dst_sel:DWORD dst_unused:UNUSED_PAD src0_sel:WORD_1 src1_sel:DWORD
	v_and_or_b32 v4, v6, s7, v4
	v_sub_u32_e32 v10, 0x3f1, v8
	v_fma_f16 v12, v101, v12, -v14
	v_or_b32_e32 v6, 0x1000, v4
	v_med3_i32 v10, v10, 0, 13
	v_cvt_f32_f16_e32 v12, v12
	v_lshrrev_b32_e32 v20, v10, v6
	v_lshlrev_b32_e32 v10, v10, v20
	v_cmp_ne_u32_e32 vcc, v10, v6
	v_cndmask_b32_e64 v6, 0, 1, vcc
	v_add_u32_e32 v8, 0xfffffc10, v8
	v_cvt_f64_f32_e32 v[22:23], v12
	v_or_b32_e32 v6, v20, v6
	v_lshl_or_b32 v10, v8, 12, v4
	v_cmp_gt_i32_e32 vcc, 1, v8
	v_cndmask_b32_e32 v6, v10, v6, vcc
	v_and_b32_e32 v10, 7, v6
	v_cmp_lt_i32_e32 vcc, 5, v10
	v_cmp_eq_u32_e64 s[0:1], 3, v10
	v_mul_f64 v[22:23], v[22:23], s[8:9]
	v_lshrrev_b32_e32 v6, 2, v6
	s_or_b64 vcc, s[0:1], vcc
	v_addc_co_u32_e32 v6, vcc, 0, v6, vcc
	v_cmp_gt_i32_e32 vcc, 31, v8
	v_cndmask_b32_e32 v6, v16, v6, vcc
	v_cmp_ne_u32_e32 vcc, 0, v4
	v_cndmask_b32_e64 v4, 0, 1, vcc
	v_lshl_or_b32 v4, v4, 9, v16
	v_cmp_eq_u32_e32 vcc, s10, v8
	v_cndmask_b32_e32 v4, v6, v4, vcc
	v_lshrrev_b32_e32 v6, 16, v21
	v_and_or_b32 v4, v6, s11, v4
	v_and_or_b32 v6, v23, s6, v22
	v_cmp_ne_u32_e32 vcc, 0, v6
	v_cndmask_b32_e64 v6, 0, 1, vcc
	v_lshrrev_b32_e32 v8, 8, v23
	v_bfe_u32 v10, v23, 20, 11
	v_and_or_b32 v6, v8, s7, v6
	v_sub_u32_e32 v12, 0x3f1, v10
	v_or_b32_e32 v8, 0x1000, v6
	v_med3_i32 v12, v12, 0, 13
	v_lshrrev_b32_e32 v14, v12, v8
	v_lshlrev_b32_e32 v12, v12, v14
	v_cmp_ne_u32_e32 vcc, v12, v8
	v_cndmask_b32_e64 v8, 0, 1, vcc
	v_add_u32_e32 v10, 0xfffffc10, v10
	v_or_b32_e32 v8, v14, v8
	v_lshl_or_b32 v12, v10, 12, v6
	v_cmp_gt_i32_e32 vcc, 1, v10
	v_cndmask_b32_e32 v8, v12, v8, vcc
	v_and_b32_e32 v12, 7, v8
	v_lshrrev_b32_e32 v14, 16, v5
	v_cmp_lt_i32_e32 vcc, 5, v12
	v_cmp_eq_u32_e64 s[0:1], 3, v12
	v_mul_f16_sdwa v12, v100, v14 dst_sel:DWORD dst_unused:UNUSED_PAD src0_sel:WORD_1 src1_sel:DWORD
	v_fma_f16 v12, v100, v5, v12
	v_cvt_f32_f16_e32 v12, v12
	v_lshrrev_b32_e32 v8, 2, v8
	s_or_b64 vcc, s[0:1], vcc
	v_addc_co_u32_e32 v8, vcc, 0, v8, vcc
	v_cvt_f64_f32_e32 v[20:21], v12
	v_cmp_gt_i32_e32 vcc, 31, v10
	v_cndmask_b32_e32 v8, v16, v8, vcc
	v_cmp_ne_u32_e32 vcc, 0, v6
	v_mul_f64 v[20:21], v[20:21], s[8:9]
	v_mov_b32_e32 v12, 0xfffff980
	v_cndmask_b32_e64 v6, 0, 1, vcc
	v_mad_u64_u32 v[18:19], s[0:1], s4, v12, v[18:19]
	v_lshl_or_b32 v6, v6, 9, v16
	v_cmp_eq_u32_e32 vcc, s10, v10
	v_cndmask_b32_e32 v6, v8, v6, vcc
	v_lshrrev_b32_e32 v8, 16, v23
	s_mul_i32 s0, s5, 0xfffff980
	v_and_or_b32 v6, v8, s11, v6
	v_and_b32_e32 v4, 0xffff, v4
	s_sub_i32 s5, s0, s4
	v_lshl_or_b32 v4, v6, 16, v4
	v_add_u32_e32 v19, s5, v19
	global_store_dword v[18:19], v4, off
	v_and_or_b32 v4, v21, s6, v20
	v_cmp_ne_u32_e32 vcc, 0, v4
	v_cndmask_b32_e64 v4, 0, 1, vcc
	v_lshrrev_b32_e32 v6, 8, v21
	v_and_or_b32 v8, v6, s7, v4
	v_bfe_u32 v6, v21, 20, 11
	v_sub_u32_e32 v10, 0x3f1, v6
	v_or_b32_e32 v4, 0x1000, v8
	v_med3_i32 v10, v10, 0, 13
	v_lshrrev_b32_e32 v20, v10, v4
	v_lshlrev_b32_e32 v10, v10, v20
	v_mul_f16_sdwa v5, v100, v5 dst_sel:DWORD dst_unused:UNUSED_PAD src0_sel:WORD_1 src1_sel:DWORD
	v_cmp_ne_u32_e32 vcc, v10, v4
	v_fma_f16 v5, v100, v14, -v5
	v_cndmask_b32_e64 v4, 0, 1, vcc
	v_add_u32_e32 v10, 0xfffffc10, v6
	v_cvt_f32_f16_e32 v5, v5
	v_or_b32_e32 v4, v20, v4
	v_lshl_or_b32 v6, v10, 12, v8
	v_cmp_gt_i32_e32 vcc, 1, v10
	v_cndmask_b32_e32 v4, v6, v4, vcc
	v_and_b32_e32 v6, 7, v4
	v_cmp_lt_i32_e32 vcc, 5, v6
	v_cmp_eq_u32_e64 s[0:1], 3, v6
	v_lshrrev_b32_e32 v6, 2, v4
	v_cvt_f64_f32_e32 v[4:5], v5
	s_or_b64 vcc, s[0:1], vcc
	v_addc_co_u32_e32 v6, vcc, 0, v6, vcc
	v_cmp_gt_i32_e32 vcc, 31, v10
	v_cndmask_b32_e32 v14, v16, v6, vcc
	v_mul_f64 v[5:6], v[4:5], s[8:9]
	v_cmp_ne_u32_e32 vcc, 0, v8
	v_cndmask_b32_e64 v4, 0, 1, vcc
	v_lshl_or_b32 v4, v4, 9, v16
	v_cmp_eq_u32_e32 vcc, s10, v10
	v_cndmask_b32_e32 v4, v14, v4, vcc
	v_lshrrev_b32_e32 v8, 16, v21
	v_and_or_b32 v8, v8, s11, v4
	v_and_or_b32 v4, v6, s6, v5
	v_cmp_ne_u32_e32 vcc, 0, v4
	v_cndmask_b32_e64 v4, 0, 1, vcc
	v_lshrrev_b32_e32 v5, 8, v6
	v_and_or_b32 v10, v5, s7, v4
	v_bfe_u32 v5, v6, 20, 11
	v_sub_u32_e32 v14, 0x3f1, v5
	v_or_b32_e32 v4, 0x1000, v10
	v_med3_i32 v14, v14, 0, 13
	v_lshrrev_b32_e32 v20, v14, v4
	v_lshlrev_b32_e32 v14, v14, v20
	v_cmp_ne_u32_e32 vcc, v14, v4
	v_cndmask_b32_e64 v4, 0, 1, vcc
	v_add_u32_e32 v14, 0xfffffc10, v5
	v_or_b32_e32 v4, v20, v4
	v_lshl_or_b32 v5, v14, 12, v10
	v_cmp_gt_i32_e32 vcc, 1, v14
	v_cndmask_b32_e32 v4, v5, v4, vcc
	v_and_b32_e32 v5, 7, v4
	v_cmp_lt_i32_e32 vcc, 5, v5
	v_cmp_eq_u32_e64 s[0:1], 3, v5
	v_lshrrev_b32_e32 v4, 2, v4
	s_or_b64 vcc, s[0:1], vcc
	v_addc_co_u32_e32 v20, vcc, 0, v4, vcc
	ds_read2_b32 v[4:5], v92 offset0:112 offset1:128
	v_cmp_gt_i32_e32 vcc, 31, v14
	v_cndmask_b32_e32 v20, v16, v20, vcc
	v_cmp_ne_u32_e32 vcc, 0, v10
	v_cndmask_b32_e64 v10, 0, 1, vcc
	s_waitcnt lgkmcnt(0)
	v_lshrrev_b32_e32 v22, 16, v4
	v_mul_f16_sdwa v21, v98, v22 dst_sel:DWORD dst_unused:UNUSED_PAD src0_sel:WORD_1 src1_sel:DWORD
	v_fma_f16 v21, v98, v4, v21
	v_cvt_f32_f16_e32 v21, v21
	v_lshl_or_b32 v10, v10, 9, v16
	v_cmp_eq_u32_e32 vcc, s10, v14
	v_cndmask_b32_e32 v10, v20, v10, vcc
	v_cvt_f64_f32_e32 v[20:21], v21
	v_lshrrev_b32_e32 v6, 16, v6
	v_and_or_b32 v6, v6, s11, v10
	v_and_b32_e32 v8, 0xffff, v8
	v_mul_f64 v[20:21], v[20:21], s[8:9]
	v_lshl_or_b32 v6, v6, 16, v8
	v_mov_b32_e32 v8, s2
	v_add_co_u32_e32 v18, vcc, s3, v18
	v_addc_co_u32_e32 v19, vcc, v19, v8, vcc
	global_store_dword v[18:19], v6, off
	v_and_or_b32 v6, v21, s6, v20
	v_cmp_ne_u32_e32 vcc, 0, v6
	v_cndmask_b32_e64 v6, 0, 1, vcc
	v_lshrrev_b32_e32 v8, 8, v21
	v_bfe_u32 v10, v21, 20, 11
	v_mul_f16_sdwa v4, v98, v4 dst_sel:DWORD dst_unused:UNUSED_PAD src0_sel:WORD_1 src1_sel:DWORD
	v_and_or_b32 v6, v8, s7, v6
	v_sub_u32_e32 v14, 0x3f1, v10
	v_fma_f16 v4, v98, v22, -v4
	v_or_b32_e32 v8, 0x1000, v6
	v_med3_i32 v14, v14, 0, 13
	v_cvt_f32_f16_e32 v4, v4
	v_lshrrev_b32_e32 v20, v14, v8
	v_lshlrev_b32_e32 v14, v14, v20
	v_cmp_ne_u32_e32 vcc, v14, v8
	v_cndmask_b32_e64 v8, 0, 1, vcc
	v_add_u32_e32 v10, 0xfffffc10, v10
	v_cvt_f64_f32_e32 v[22:23], v4
	v_or_b32_e32 v8, v20, v8
	v_lshl_or_b32 v14, v10, 12, v6
	v_cmp_gt_i32_e32 vcc, 1, v10
	v_cndmask_b32_e32 v8, v14, v8, vcc
	v_and_b32_e32 v14, 7, v8
	v_cmp_lt_i32_e32 vcc, 5, v14
	v_cmp_eq_u32_e64 s[0:1], 3, v14
	v_mul_f64 v[22:23], v[22:23], s[8:9]
	v_lshrrev_b32_e32 v8, 2, v8
	s_or_b64 vcc, s[0:1], vcc
	v_addc_co_u32_e32 v4, vcc, 0, v8, vcc
	v_cmp_gt_i32_e32 vcc, 31, v10
	v_cndmask_b32_e32 v4, v16, v4, vcc
	v_cmp_ne_u32_e32 vcc, 0, v6
	v_cndmask_b32_e64 v6, 0, 1, vcc
	v_lshl_or_b32 v6, v6, 9, v16
	v_cmp_eq_u32_e32 vcc, s10, v10
	v_cndmask_b32_e32 v4, v4, v6, vcc
	v_lshrrev_b32_e32 v6, 16, v21
	v_and_or_b32 v4, v6, s11, v4
	v_and_or_b32 v6, v23, s6, v22
	v_cmp_ne_u32_e32 vcc, 0, v6
	v_cndmask_b32_e64 v6, 0, 1, vcc
	v_lshrrev_b32_e32 v8, 8, v23
	v_bfe_u32 v10, v23, 20, 11
	v_and_or_b32 v6, v8, s7, v6
	v_sub_u32_e32 v14, 0x3f1, v10
	v_or_b32_e32 v8, 0x1000, v6
	v_med3_i32 v14, v14, 0, 13
	v_lshrrev_b32_e32 v20, v14, v8
	v_lshlrev_b32_e32 v14, v14, v20
	v_cmp_ne_u32_e32 vcc, v14, v8
	v_cndmask_b32_e64 v8, 0, 1, vcc
	v_add_u32_e32 v10, 0xfffffc10, v10
	v_or_b32_e32 v8, v20, v8
	v_lshl_or_b32 v14, v10, 12, v6
	v_cmp_gt_i32_e32 vcc, 1, v10
	v_cndmask_b32_e32 v8, v14, v8, vcc
	v_and_b32_e32 v14, 7, v8
	v_cmp_lt_i32_e32 vcc, 5, v14
	v_cmp_eq_u32_e64 s[0:1], 3, v14
	v_lshrrev_b32_e32 v14, 16, v7
	v_mul_f16_sdwa v20, v97, v14 dst_sel:DWORD dst_unused:UNUSED_PAD src0_sel:WORD_1 src1_sel:DWORD
	v_fma_f16 v20, v97, v7, v20
	v_cvt_f32_f16_e32 v20, v20
	v_lshrrev_b32_e32 v8, 2, v8
	s_or_b64 vcc, s[0:1], vcc
	v_addc_co_u32_e32 v8, vcc, 0, v8, vcc
	v_cvt_f64_f32_e32 v[20:21], v20
	v_cmp_gt_i32_e32 vcc, 31, v10
	v_cndmask_b32_e32 v8, v16, v8, vcc
	v_cmp_ne_u32_e32 vcc, 0, v6
	v_mul_f64 v[20:21], v[20:21], s[8:9]
	v_cndmask_b32_e64 v6, 0, 1, vcc
	v_lshl_or_b32 v6, v6, 9, v16
	v_cmp_eq_u32_e32 vcc, s10, v10
	v_cndmask_b32_e32 v6, v8, v6, vcc
	v_lshrrev_b32_e32 v8, 16, v23
	v_and_or_b32 v6, v8, s11, v6
	v_and_b32_e32 v4, 0xffff, v4
	v_lshl_or_b32 v4, v6, 16, v4
	v_mov_b32_e32 v6, s2
	v_add_co_u32_e32 v18, vcc, s3, v18
	v_addc_co_u32_e32 v19, vcc, v19, v6, vcc
	global_store_dword v[18:19], v4, off
	v_and_or_b32 v4, v21, s6, v20
	v_cmp_ne_u32_e32 vcc, 0, v4
	v_cndmask_b32_e64 v4, 0, 1, vcc
	v_lshrrev_b32_e32 v6, 8, v21
	v_bfe_u32 v8, v21, 20, 11
	v_and_or_b32 v4, v6, s7, v4
	v_sub_u32_e32 v10, 0x3f1, v8
	v_or_b32_e32 v6, 0x1000, v4
	v_med3_i32 v10, v10, 0, 13
	v_lshrrev_b32_e32 v20, v10, v6
	v_lshlrev_b32_e32 v10, v10, v20
	v_mul_f16_sdwa v7, v97, v7 dst_sel:DWORD dst_unused:UNUSED_PAD src0_sel:WORD_1 src1_sel:DWORD
	v_cmp_ne_u32_e32 vcc, v10, v6
	v_fma_f16 v7, v97, v14, -v7
	v_cndmask_b32_e64 v6, 0, 1, vcc
	v_add_u32_e32 v10, 0xfffffc10, v8
	v_cvt_f32_f16_e32 v7, v7
	v_or_b32_e32 v6, v20, v6
	v_lshl_or_b32 v8, v10, 12, v4
	v_cmp_gt_i32_e32 vcc, 1, v10
	v_cndmask_b32_e32 v6, v8, v6, vcc
	v_and_b32_e32 v8, 7, v6
	v_cmp_lt_i32_e32 vcc, 5, v8
	v_cmp_eq_u32_e64 s[0:1], 3, v8
	v_lshrrev_b32_e32 v8, 2, v6
	v_cvt_f64_f32_e32 v[6:7], v7
	s_or_b64 vcc, s[0:1], vcc
	v_addc_co_u32_e32 v8, vcc, 0, v8, vcc
	v_cmp_gt_i32_e32 vcc, 31, v10
	v_cndmask_b32_e32 v14, v16, v8, vcc
	v_mul_f64 v[7:8], v[6:7], s[8:9]
	v_cmp_ne_u32_e32 vcc, 0, v4
	v_cndmask_b32_e64 v4, 0, 1, vcc
	v_lshl_or_b32 v4, v4, 9, v16
	v_cmp_eq_u32_e32 vcc, s10, v10
	v_cndmask_b32_e32 v4, v14, v4, vcc
	v_lshrrev_b32_e32 v6, 16, v21
	v_and_or_b32 v4, v6, s11, v4
	v_and_or_b32 v6, v8, s6, v7
	v_cmp_ne_u32_e32 vcc, 0, v6
	v_cndmask_b32_e64 v6, 0, 1, vcc
	v_lshrrev_b32_e32 v7, 8, v8
	v_and_or_b32 v10, v7, s7, v6
	v_bfe_u32 v7, v8, 20, 11
	v_sub_u32_e32 v14, 0x3f1, v7
	v_or_b32_e32 v6, 0x1000, v10
	v_med3_i32 v14, v14, 0, 13
	v_lshrrev_b32_e32 v20, v14, v6
	v_lshlrev_b32_e32 v14, v14, v20
	v_cmp_ne_u32_e32 vcc, v14, v6
	v_cndmask_b32_e64 v6, 0, 1, vcc
	v_add_u32_e32 v14, 0xfffffc10, v7
	v_or_b32_e32 v6, v20, v6
	v_lshl_or_b32 v7, v14, 12, v10
	v_cmp_gt_i32_e32 vcc, 1, v14
	v_cndmask_b32_e32 v6, v7, v6, vcc
	v_and_b32_e32 v7, 7, v6
	v_cmp_lt_i32_e32 vcc, 5, v7
	v_cmp_eq_u32_e64 s[0:1], 3, v7
	v_lshrrev_b32_e32 v6, 2, v6
	s_or_b64 vcc, s[0:1], vcc
	v_addc_co_u32_e32 v20, vcc, 0, v6, vcc
	ds_read2_b32 v[6:7], v92 offset0:208 offset1:224
	v_cmp_gt_i32_e32 vcc, 31, v14
	v_cndmask_b32_e32 v20, v16, v20, vcc
	v_cmp_ne_u32_e32 vcc, 0, v10
	v_cndmask_b32_e64 v10, 0, 1, vcc
	s_waitcnt lgkmcnt(0)
	v_lshrrev_b32_e32 v22, 16, v6
	v_mul_f16_sdwa v21, v95, v22 dst_sel:DWORD dst_unused:UNUSED_PAD src0_sel:WORD_1 src1_sel:DWORD
	v_fma_f16 v21, v95, v6, v21
	v_cvt_f32_f16_e32 v21, v21
	v_lshl_or_b32 v10, v10, 9, v16
	v_cmp_eq_u32_e32 vcc, s10, v14
	v_cndmask_b32_e32 v10, v20, v10, vcc
	v_cvt_f64_f32_e32 v[20:21], v21
	v_lshrrev_b32_e32 v8, 16, v8
	v_and_or_b32 v8, v8, s11, v10
	v_and_b32_e32 v4, 0xffff, v4
	v_mul_f64 v[20:21], v[20:21], s[8:9]
	v_lshl_or_b32 v4, v8, 16, v4
	v_mov_b32_e32 v8, s2
	v_add_co_u32_e32 v18, vcc, s3, v18
	v_addc_co_u32_e32 v19, vcc, v19, v8, vcc
	global_store_dword v[18:19], v4, off
	v_and_or_b32 v4, v21, s6, v20
	v_cmp_ne_u32_e32 vcc, 0, v4
	v_cndmask_b32_e64 v4, 0, 1, vcc
	v_lshrrev_b32_e32 v8, 8, v21
	v_bfe_u32 v10, v21, 20, 11
	v_mul_f16_sdwa v6, v95, v6 dst_sel:DWORD dst_unused:UNUSED_PAD src0_sel:WORD_1 src1_sel:DWORD
	v_and_or_b32 v4, v8, s7, v4
	v_sub_u32_e32 v14, 0x3f1, v10
	v_fma_f16 v6, v95, v22, -v6
	v_or_b32_e32 v8, 0x1000, v4
	v_med3_i32 v14, v14, 0, 13
	v_cvt_f32_f16_e32 v6, v6
	v_lshrrev_b32_e32 v20, v14, v8
	v_lshlrev_b32_e32 v14, v14, v20
	v_cmp_ne_u32_e32 vcc, v14, v8
	v_cndmask_b32_e64 v8, 0, 1, vcc
	v_add_u32_e32 v10, 0xfffffc10, v10
	v_cvt_f64_f32_e32 v[22:23], v6
	v_or_b32_e32 v8, v20, v8
	v_lshl_or_b32 v14, v10, 12, v4
	v_cmp_gt_i32_e32 vcc, 1, v10
	v_cndmask_b32_e32 v8, v14, v8, vcc
	v_and_b32_e32 v14, 7, v8
	v_cmp_lt_i32_e32 vcc, 5, v14
	v_cmp_eq_u32_e64 s[0:1], 3, v14
	v_mul_f64 v[22:23], v[22:23], s[8:9]
	v_lshrrev_b32_e32 v8, 2, v8
	s_or_b64 vcc, s[0:1], vcc
	v_addc_co_u32_e32 v6, vcc, 0, v8, vcc
	v_cmp_gt_i32_e32 vcc, 31, v10
	v_cndmask_b32_e32 v6, v16, v6, vcc
	v_cmp_ne_u32_e32 vcc, 0, v4
	v_cndmask_b32_e64 v4, 0, 1, vcc
	v_lshl_or_b32 v4, v4, 9, v16
	v_cmp_eq_u32_e32 vcc, s10, v10
	v_cndmask_b32_e32 v4, v6, v4, vcc
	v_lshrrev_b32_e32 v6, 16, v21
	v_and_or_b32 v4, v6, s11, v4
	v_and_or_b32 v6, v23, s6, v22
	v_cmp_ne_u32_e32 vcc, 0, v6
	v_cndmask_b32_e64 v6, 0, 1, vcc
	v_lshrrev_b32_e32 v8, 8, v23
	v_bfe_u32 v10, v23, 20, 11
	v_and_or_b32 v6, v8, s7, v6
	v_sub_u32_e32 v14, 0x3f1, v10
	v_or_b32_e32 v8, 0x1000, v6
	v_med3_i32 v14, v14, 0, 13
	v_lshrrev_b32_e32 v20, v14, v8
	v_lshlrev_b32_e32 v14, v14, v20
	v_cmp_ne_u32_e32 vcc, v14, v8
	v_cndmask_b32_e64 v8, 0, 1, vcc
	v_add_u32_e32 v10, 0xfffffc10, v10
	v_or_b32_e32 v8, v20, v8
	v_lshl_or_b32 v14, v10, 12, v6
	v_cmp_gt_i32_e32 vcc, 1, v10
	v_cndmask_b32_e32 v8, v14, v8, vcc
	v_and_b32_e32 v14, 7, v8
	v_cmp_lt_i32_e32 vcc, 5, v14
	v_cmp_eq_u32_e64 s[0:1], 3, v14
	v_lshrrev_b32_e32 v14, 16, v9
	v_mul_f16_sdwa v20, v99, v14 dst_sel:DWORD dst_unused:UNUSED_PAD src0_sel:WORD_1 src1_sel:DWORD
	v_fma_f16 v20, v99, v9, v20
	v_cvt_f32_f16_e32 v20, v20
	v_lshrrev_b32_e32 v8, 2, v8
	s_or_b64 vcc, s[0:1], vcc
	v_addc_co_u32_e32 v8, vcc, 0, v8, vcc
	v_cvt_f64_f32_e32 v[20:21], v20
	v_cmp_gt_i32_e32 vcc, 31, v10
	v_cndmask_b32_e32 v8, v16, v8, vcc
	v_cmp_ne_u32_e32 vcc, 0, v6
	v_mul_f64 v[20:21], v[20:21], s[8:9]
	v_cndmask_b32_e64 v6, 0, 1, vcc
	v_lshl_or_b32 v6, v6, 9, v16
	v_cmp_eq_u32_e32 vcc, s10, v10
	v_cndmask_b32_e32 v6, v8, v6, vcc
	v_lshrrev_b32_e32 v8, 16, v23
	v_and_or_b32 v6, v8, s11, v6
	v_and_b32_e32 v4, 0xffff, v4
	v_lshl_or_b32 v4, v6, 16, v4
	v_mov_b32_e32 v6, s2
	v_add_co_u32_e32 v18, vcc, s3, v18
	v_addc_co_u32_e32 v19, vcc, v19, v6, vcc
	global_store_dword v[18:19], v4, off
	v_and_or_b32 v4, v21, s6, v20
	v_cmp_ne_u32_e32 vcc, 0, v4
	v_cndmask_b32_e64 v4, 0, 1, vcc
	v_lshrrev_b32_e32 v6, 8, v21
	v_bfe_u32 v8, v21, 20, 11
	v_and_or_b32 v4, v6, s7, v4
	v_sub_u32_e32 v10, 0x3f1, v8
	v_or_b32_e32 v6, 0x1000, v4
	v_med3_i32 v10, v10, 0, 13
	v_lshrrev_b32_e32 v20, v10, v6
	v_lshlrev_b32_e32 v10, v10, v20
	v_cmp_ne_u32_e32 vcc, v10, v6
	v_mul_f16_sdwa v9, v99, v9 dst_sel:DWORD dst_unused:UNUSED_PAD src0_sel:WORD_1 src1_sel:DWORD
	v_cndmask_b32_e64 v6, 0, 1, vcc
	v_fma_f16 v9, v99, v14, -v9
	v_or_b32_e32 v6, v20, v6
	v_add_u32_e32 v20, 0xfffffc10, v8
	v_cvt_f32_f16_e32 v9, v9
	v_lshl_or_b32 v8, v20, 12, v4
	v_cmp_gt_i32_e32 vcc, 1, v20
	v_cndmask_b32_e32 v6, v8, v6, vcc
	v_and_b32_e32 v8, 7, v6
	v_cmp_lt_i32_e32 vcc, 5, v8
	v_cmp_eq_u32_e64 s[0:1], 3, v8
	v_cvt_f64_f32_e32 v[8:9], v9
	v_lshrrev_b32_e32 v6, 2, v6
	s_or_b64 vcc, s[0:1], vcc
	v_addc_co_u32_e32 v6, vcc, 0, v6, vcc
	v_mul_f64 v[9:10], v[8:9], s[8:9]
	v_cmp_gt_i32_e32 vcc, 31, v20
	v_cndmask_b32_e32 v6, v16, v6, vcc
	v_cmp_ne_u32_e32 vcc, 0, v4
	v_cndmask_b32_e64 v4, 0, 1, vcc
	v_lshl_or_b32 v4, v4, 9, v16
	v_cmp_eq_u32_e32 vcc, s10, v20
	v_cndmask_b32_e32 v4, v6, v4, vcc
	v_lshrrev_b32_e32 v6, 16, v21
	v_and_or_b32 v4, v6, s11, v4
	v_and_or_b32 v6, v10, s6, v9
	v_cmp_ne_u32_e32 vcc, 0, v6
	v_cndmask_b32_e64 v6, 0, 1, vcc
	v_lshrrev_b32_e32 v8, 8, v10
	v_bfe_u32 v9, v10, 20, 11
	v_and_or_b32 v6, v8, s7, v6
	v_sub_u32_e32 v14, 0x3f1, v9
	v_or_b32_e32 v8, 0x1000, v6
	v_med3_i32 v14, v14, 0, 13
	v_lshrrev_b32_e32 v20, v14, v8
	v_lshlrev_b32_e32 v14, v14, v20
	v_cmp_ne_u32_e32 vcc, v14, v8
	v_cndmask_b32_e64 v8, 0, 1, vcc
	v_add_u32_e32 v14, 0xfffffc10, v9
	v_or_b32_e32 v8, v20, v8
	v_lshl_or_b32 v9, v14, 12, v6
	v_cmp_gt_i32_e32 vcc, 1, v14
	v_cndmask_b32_e32 v8, v9, v8, vcc
	v_and_b32_e32 v9, 7, v8
	v_cmp_lt_i32_e32 vcc, 5, v9
	v_cmp_eq_u32_e64 s[0:1], 3, v9
	v_lshrrev_b32_e32 v8, 2, v8
	s_or_b64 vcc, s[0:1], vcc
	v_addc_co_u32_e32 v20, vcc, 0, v8, vcc
	ds_read2_b32 v[8:9], v36 offset0:48 offset1:64
	v_cmp_gt_i32_e32 vcc, 31, v14
	v_cndmask_b32_e32 v20, v16, v20, vcc
	v_cmp_ne_u32_e32 vcc, 0, v6
	v_cndmask_b32_e64 v6, 0, 1, vcc
	s_waitcnt lgkmcnt(0)
	v_lshrrev_b32_e32 v22, 16, v8
	v_mul_f16_sdwa v21, v96, v22 dst_sel:DWORD dst_unused:UNUSED_PAD src0_sel:WORD_1 src1_sel:DWORD
	v_fma_f16 v21, v96, v8, v21
	v_cvt_f32_f16_e32 v21, v21
	v_lshl_or_b32 v6, v6, 9, v16
	v_cmp_eq_u32_e32 vcc, s10, v14
	v_cndmask_b32_e32 v6, v20, v6, vcc
	v_cvt_f64_f32_e32 v[20:21], v21
	v_lshrrev_b32_e32 v10, 16, v10
	v_and_or_b32 v6, v10, s11, v6
	v_and_b32_e32 v4, 0xffff, v4
	v_mul_f64 v[20:21], v[20:21], s[8:9]
	v_lshl_or_b32 v4, v6, 16, v4
	v_mov_b32_e32 v6, s2
	v_add_co_u32_e32 v18, vcc, s3, v18
	v_addc_co_u32_e32 v19, vcc, v19, v6, vcc
	global_store_dword v[18:19], v4, off
	v_and_or_b32 v4, v21, s6, v20
	v_cmp_ne_u32_e32 vcc, 0, v4
	v_cndmask_b32_e64 v4, 0, 1, vcc
	v_lshrrev_b32_e32 v6, 8, v21
	v_bfe_u32 v10, v21, 20, 11
	v_mul_f16_sdwa v8, v96, v8 dst_sel:DWORD dst_unused:UNUSED_PAD src0_sel:WORD_1 src1_sel:DWORD
	v_and_or_b32 v4, v6, s7, v4
	v_sub_u32_e32 v14, 0x3f1, v10
	v_fma_f16 v8, v96, v22, -v8
	v_or_b32_e32 v6, 0x1000, v4
	v_med3_i32 v14, v14, 0, 13
	v_cvt_f32_f16_e32 v8, v8
	v_lshrrev_b32_e32 v20, v14, v6
	v_lshlrev_b32_e32 v14, v14, v20
	v_cmp_ne_u32_e32 vcc, v14, v6
	v_cndmask_b32_e64 v6, 0, 1, vcc
	v_add_u32_e32 v10, 0xfffffc10, v10
	v_cvt_f64_f32_e32 v[22:23], v8
	v_or_b32_e32 v6, v20, v6
	v_lshl_or_b32 v14, v10, 12, v4
	v_cmp_gt_i32_e32 vcc, 1, v10
	v_cndmask_b32_e32 v6, v14, v6, vcc
	v_and_b32_e32 v14, 7, v6
	v_cmp_lt_i32_e32 vcc, 5, v14
	v_cmp_eq_u32_e64 s[0:1], 3, v14
	v_mul_f64 v[22:23], v[22:23], s[8:9]
	v_lshrrev_b32_e32 v6, 2, v6
	s_or_b64 vcc, s[0:1], vcc
	v_addc_co_u32_e32 v6, vcc, 0, v6, vcc
	v_cmp_gt_i32_e32 vcc, 31, v10
	v_cndmask_b32_e32 v6, v16, v6, vcc
	v_cmp_ne_u32_e32 vcc, 0, v4
	v_cndmask_b32_e64 v4, 0, 1, vcc
	v_lshl_or_b32 v4, v4, 9, v16
	v_cmp_eq_u32_e32 vcc, s10, v10
	v_cndmask_b32_e32 v4, v6, v4, vcc
	v_lshrrev_b32_e32 v6, 16, v21
	v_and_or_b32 v4, v6, s11, v4
	v_and_or_b32 v6, v23, s6, v22
	v_cmp_ne_u32_e32 vcc, 0, v6
	v_cndmask_b32_e64 v6, 0, 1, vcc
	v_lshrrev_b32_e32 v8, 8, v23
	v_bfe_u32 v10, v23, 20, 11
	v_and_or_b32 v6, v8, s7, v6
	v_sub_u32_e32 v14, 0x3f1, v10
	v_or_b32_e32 v8, 0x1000, v6
	v_med3_i32 v14, v14, 0, 13
	v_lshrrev_b32_e32 v20, v14, v8
	v_lshlrev_b32_e32 v14, v14, v20
	v_cmp_ne_u32_e32 vcc, v14, v8
	v_cndmask_b32_e64 v8, 0, 1, vcc
	v_add_u32_e32 v10, 0xfffffc10, v10
	v_or_b32_e32 v8, v20, v8
	v_lshl_or_b32 v14, v10, 12, v6
	v_cmp_gt_i32_e32 vcc, 1, v10
	v_cndmask_b32_e32 v8, v14, v8, vcc
	v_and_b32_e32 v14, 7, v8
	v_cmp_lt_i32_e32 vcc, 5, v14
	v_cmp_eq_u32_e64 s[0:1], 3, v14
	v_lshrrev_b32_e32 v14, 16, v11
	v_mul_f16_sdwa v20, v94, v14 dst_sel:DWORD dst_unused:UNUSED_PAD src0_sel:WORD_1 src1_sel:DWORD
	v_fma_f16 v20, v94, v11, v20
	v_cvt_f32_f16_e32 v20, v20
	v_lshrrev_b32_e32 v8, 2, v8
	s_or_b64 vcc, s[0:1], vcc
	v_addc_co_u32_e32 v8, vcc, 0, v8, vcc
	v_cvt_f64_f32_e32 v[20:21], v20
	v_cmp_gt_i32_e32 vcc, 31, v10
	v_cndmask_b32_e32 v8, v16, v8, vcc
	v_cmp_ne_u32_e32 vcc, 0, v6
	v_mul_f64 v[20:21], v[20:21], s[8:9]
	v_cndmask_b32_e64 v6, 0, 1, vcc
	v_lshl_or_b32 v6, v6, 9, v16
	v_cmp_eq_u32_e32 vcc, s10, v10
	v_cndmask_b32_e32 v6, v8, v6, vcc
	v_lshrrev_b32_e32 v8, 16, v23
	v_and_or_b32 v6, v8, s11, v6
	v_and_b32_e32 v4, 0xffff, v4
	v_lshl_or_b32 v4, v6, 16, v4
	v_mov_b32_e32 v6, s2
	v_add_co_u32_e32 v18, vcc, s3, v18
	v_addc_co_u32_e32 v19, vcc, v19, v6, vcc
	global_store_dword v[18:19], v4, off
	v_and_or_b32 v4, v21, s6, v20
	v_cmp_ne_u32_e32 vcc, 0, v4
	v_cndmask_b32_e64 v4, 0, 1, vcc
	v_lshrrev_b32_e32 v6, 8, v21
	v_bfe_u32 v8, v21, 20, 11
	v_and_or_b32 v4, v6, s7, v4
	v_sub_u32_e32 v10, 0x3f1, v8
	v_or_b32_e32 v6, 0x1000, v4
	v_med3_i32 v10, v10, 0, 13
	v_lshrrev_b32_e32 v20, v10, v6
	v_lshlrev_b32_e32 v10, v10, v20
	v_mul_f16_sdwa v11, v94, v11 dst_sel:DWORD dst_unused:UNUSED_PAD src0_sel:WORD_1 src1_sel:DWORD
	v_cmp_ne_u32_e32 vcc, v10, v6
	v_fma_f16 v11, v94, v14, -v11
	v_cndmask_b32_e64 v6, 0, 1, vcc
	v_add_u32_e32 v8, 0xfffffc10, v8
	v_cvt_f32_f16_e32 v11, v11
	v_or_b32_e32 v6, v20, v6
	v_lshl_or_b32 v10, v8, 12, v4
	v_cmp_gt_i32_e32 vcc, 1, v8
	v_cndmask_b32_e32 v6, v10, v6, vcc
	v_and_b32_e32 v10, 7, v6
	v_cmp_lt_i32_e32 vcc, 5, v10
	v_cmp_eq_u32_e64 s[0:1], 3, v10
	v_cvt_f64_f32_e32 v[10:11], v11
	v_lshrrev_b32_e32 v6, 2, v6
	s_or_b64 vcc, s[0:1], vcc
	v_addc_co_u32_e32 v6, vcc, 0, v6, vcc
	v_mul_f64 v[22:23], v[10:11], s[8:9]
	v_cmp_gt_i32_e32 vcc, 31, v8
	v_cndmask_b32_e32 v6, v16, v6, vcc
	v_cmp_ne_u32_e32 vcc, 0, v4
	v_cndmask_b32_e64 v4, 0, 1, vcc
	v_lshl_or_b32 v4, v4, 9, v16
	v_cmp_eq_u32_e32 vcc, s10, v8
	v_cndmask_b32_e32 v4, v6, v4, vcc
	v_lshrrev_b32_e32 v6, 16, v21
	v_and_or_b32 v4, v6, s11, v4
	v_and_or_b32 v6, v23, s6, v22
	v_cmp_ne_u32_e32 vcc, 0, v6
	v_cndmask_b32_e64 v6, 0, 1, vcc
	v_lshrrev_b32_e32 v8, 8, v23
	v_bfe_u32 v10, v23, 20, 11
	v_and_or_b32 v6, v8, s7, v6
	v_sub_u32_e32 v11, 0x3f1, v10
	v_or_b32_e32 v8, 0x1000, v6
	v_med3_i32 v11, v11, 0, 13
	v_lshrrev_b32_e32 v14, v11, v8
	v_lshlrev_b32_e32 v11, v11, v14
	v_cmp_ne_u32_e32 vcc, v11, v8
	v_cndmask_b32_e64 v8, 0, 1, vcc
	v_or_b32_e32 v8, v14, v8
	v_add_u32_e32 v14, 0xfffffc10, v10
	v_lshl_or_b32 v10, v14, 12, v6
	v_cmp_gt_i32_e32 vcc, 1, v14
	v_cndmask_b32_e32 v8, v10, v8, vcc
	v_and_b32_e32 v10, 7, v8
	v_cmp_lt_i32_e32 vcc, 5, v10
	v_cmp_eq_u32_e64 s[0:1], 3, v10
	ds_read2_b32 v[10:11], v36 offset0:144 offset1:160
	v_lshrrev_b32_e32 v8, 2, v8
	s_or_b64 vcc, s[0:1], vcc
	v_addc_co_u32_e32 v8, vcc, 0, v8, vcc
	s_waitcnt lgkmcnt(0)
	v_lshrrev_b32_e32 v22, 16, v10
	v_mul_f16_sdwa v20, v93, v22 dst_sel:DWORD dst_unused:UNUSED_PAD src0_sel:WORD_1 src1_sel:DWORD
	v_fma_f16 v20, v93, v10, v20
	v_cvt_f32_f16_e32 v20, v20
	v_cmp_gt_i32_e32 vcc, 31, v14
	v_cndmask_b32_e32 v8, v16, v8, vcc
	v_cmp_ne_u32_e32 vcc, 0, v6
	v_cvt_f64_f32_e32 v[20:21], v20
	v_cndmask_b32_e64 v6, 0, 1, vcc
	v_lshl_or_b32 v6, v6, 9, v16
	v_cmp_eq_u32_e32 vcc, s10, v14
	v_mul_f64 v[20:21], v[20:21], s[8:9]
	v_cndmask_b32_e32 v6, v8, v6, vcc
	v_lshrrev_b32_e32 v8, 16, v23
	v_and_or_b32 v6, v8, s11, v6
	v_and_b32_e32 v4, 0xffff, v4
	v_lshl_or_b32 v4, v6, 16, v4
	v_mov_b32_e32 v6, s2
	v_add_co_u32_e32 v18, vcc, s3, v18
	v_addc_co_u32_e32 v19, vcc, v19, v6, vcc
	global_store_dword v[18:19], v4, off
	v_and_or_b32 v4, v21, s6, v20
	v_cmp_ne_u32_e32 vcc, 0, v4
	v_cndmask_b32_e64 v4, 0, 1, vcc
	v_lshrrev_b32_e32 v6, 8, v21
	v_bfe_u32 v8, v21, 20, 11
	v_mul_f16_sdwa v10, v93, v10 dst_sel:DWORD dst_unused:UNUSED_PAD src0_sel:WORD_1 src1_sel:DWORD
	v_and_or_b32 v4, v6, s7, v4
	v_sub_u32_e32 v14, 0x3f1, v8
	v_fma_f16 v10, v93, v22, -v10
	v_or_b32_e32 v6, 0x1000, v4
	v_med3_i32 v14, v14, 0, 13
	v_cvt_f32_f16_e32 v10, v10
	v_lshrrev_b32_e32 v20, v14, v6
	v_lshlrev_b32_e32 v14, v14, v20
	v_cmp_ne_u32_e32 vcc, v14, v6
	v_cndmask_b32_e64 v6, 0, 1, vcc
	v_add_u32_e32 v8, 0xfffffc10, v8
	v_cvt_f64_f32_e32 v[22:23], v10
	v_or_b32_e32 v6, v20, v6
	v_lshl_or_b32 v14, v8, 12, v4
	v_cmp_gt_i32_e32 vcc, 1, v8
	v_cndmask_b32_e32 v6, v14, v6, vcc
	v_and_b32_e32 v14, 7, v6
	v_cmp_lt_i32_e32 vcc, 5, v14
	v_cmp_eq_u32_e64 s[0:1], 3, v14
	v_mul_f64 v[22:23], v[22:23], s[8:9]
	v_lshrrev_b32_e32 v6, 2, v6
	s_or_b64 vcc, s[0:1], vcc
	v_addc_co_u32_e32 v6, vcc, 0, v6, vcc
	v_cmp_gt_i32_e32 vcc, 31, v8
	v_cndmask_b32_e32 v6, v16, v6, vcc
	v_cmp_ne_u32_e32 vcc, 0, v4
	v_cndmask_b32_e64 v4, 0, 1, vcc
	v_lshl_or_b32 v4, v4, 9, v16
	v_cmp_eq_u32_e32 vcc, s10, v8
	v_cndmask_b32_e32 v4, v6, v4, vcc
	v_lshrrev_b32_e32 v6, 16, v21
	v_and_or_b32 v4, v6, s11, v4
	v_and_or_b32 v6, v23, s6, v22
	v_cmp_ne_u32_e32 vcc, 0, v6
	v_cndmask_b32_e64 v6, 0, 1, vcc
	v_lshrrev_b32_e32 v8, 8, v23
	v_bfe_u32 v10, v23, 20, 11
	v_and_or_b32 v6, v8, s7, v6
	v_sub_u32_e32 v14, 0x3f1, v10
	v_or_b32_e32 v8, 0x1000, v6
	v_med3_i32 v14, v14, 0, 13
	v_lshrrev_b32_e32 v20, v14, v8
	v_lshlrev_b32_e32 v14, v14, v20
	v_cmp_ne_u32_e32 vcc, v14, v8
	v_cndmask_b32_e64 v8, 0, 1, vcc
	v_add_u32_e32 v10, 0xfffffc10, v10
	v_or_b32_e32 v8, v20, v8
	v_lshl_or_b32 v14, v10, 12, v6
	v_cmp_gt_i32_e32 vcc, 1, v10
	v_cndmask_b32_e32 v8, v14, v8, vcc
	v_and_b32_e32 v14, 7, v8
	v_cmp_lt_i32_e32 vcc, 5, v14
	v_cmp_eq_u32_e64 s[0:1], 3, v14
	v_lshrrev_b32_e32 v14, 16, v13
	v_mul_f16_sdwa v20, v91, v14 dst_sel:DWORD dst_unused:UNUSED_PAD src0_sel:WORD_1 src1_sel:DWORD
	v_fma_f16 v20, v91, v13, v20
	v_cvt_f32_f16_e32 v20, v20
	v_lshrrev_b32_e32 v8, 2, v8
	s_or_b64 vcc, s[0:1], vcc
	v_addc_co_u32_e32 v8, vcc, 0, v8, vcc
	v_cvt_f64_f32_e32 v[20:21], v20
	v_cmp_gt_i32_e32 vcc, 31, v10
	v_cndmask_b32_e32 v8, v16, v8, vcc
	v_cmp_ne_u32_e32 vcc, 0, v6
	v_mul_f64 v[20:21], v[20:21], s[8:9]
	v_cndmask_b32_e64 v6, 0, 1, vcc
	v_lshl_or_b32 v6, v6, 9, v16
	v_cmp_eq_u32_e32 vcc, s10, v10
	v_cndmask_b32_e32 v6, v8, v6, vcc
	v_lshrrev_b32_e32 v8, 16, v23
	v_and_or_b32 v6, v8, s11, v6
	v_and_b32_e32 v4, 0xffff, v4
	v_lshl_or_b32 v4, v6, 16, v4
	v_mov_b32_e32 v6, s2
	v_add_co_u32_e32 v18, vcc, s3, v18
	v_addc_co_u32_e32 v19, vcc, v19, v6, vcc
	global_store_dword v[18:19], v4, off
	v_and_or_b32 v4, v21, s6, v20
	v_cmp_ne_u32_e32 vcc, 0, v4
	v_cndmask_b32_e64 v4, 0, 1, vcc
	v_lshrrev_b32_e32 v6, 8, v21
	v_bfe_u32 v8, v21, 20, 11
	v_mul_f16_sdwa v13, v91, v13 dst_sel:DWORD dst_unused:UNUSED_PAD src0_sel:WORD_1 src1_sel:DWORD
	v_and_or_b32 v4, v6, s7, v4
	v_sub_u32_e32 v10, 0x3f1, v8
	v_fma_f16 v13, v91, v14, -v13
	v_or_b32_e32 v6, 0x1000, v4
	v_med3_i32 v10, v10, 0, 13
	v_cvt_f32_f16_e32 v13, v13
	v_lshrrev_b32_e32 v20, v10, v6
	v_lshlrev_b32_e32 v10, v10, v20
	v_cmp_ne_u32_e32 vcc, v10, v6
	v_cndmask_b32_e64 v6, 0, 1, vcc
	v_add_u32_e32 v8, 0xfffffc10, v8
	v_cvt_f64_f32_e32 v[13:14], v13
	v_or_b32_e32 v6, v20, v6
	v_lshl_or_b32 v10, v8, 12, v4
	v_cmp_gt_i32_e32 vcc, 1, v8
	v_cndmask_b32_e32 v6, v10, v6, vcc
	v_and_b32_e32 v10, 7, v6
	v_cmp_lt_i32_e32 vcc, 5, v10
	v_cmp_eq_u32_e64 s[0:1], 3, v10
	v_mul_f64 v[13:14], v[13:14], s[8:9]
	v_lshrrev_b32_e32 v6, 2, v6
	s_or_b64 vcc, s[0:1], vcc
	v_addc_co_u32_e32 v6, vcc, 0, v6, vcc
	v_cmp_gt_i32_e32 vcc, 31, v8
	v_cndmask_b32_e32 v6, v16, v6, vcc
	v_cmp_ne_u32_e32 vcc, 0, v4
	v_cndmask_b32_e64 v4, 0, 1, vcc
	v_lshl_or_b32 v4, v4, 9, v16
	v_cmp_eq_u32_e32 vcc, s10, v8
	v_cndmask_b32_e32 v4, v6, v4, vcc
	v_lshrrev_b32_e32 v6, 16, v21
	v_and_or_b32 v4, v6, s11, v4
	v_and_or_b32 v6, v14, s6, v13
	v_cmp_ne_u32_e32 vcc, 0, v6
	v_cndmask_b32_e64 v6, 0, 1, vcc
	v_lshrrev_b32_e32 v8, 8, v14
	v_bfe_u32 v10, v14, 20, 11
	v_and_or_b32 v6, v8, s7, v6
	v_sub_u32_e32 v13, 0x3f1, v10
	v_or_b32_e32 v8, 0x1000, v6
	v_med3_i32 v13, v13, 0, 13
	v_lshrrev_b32_e32 v20, v13, v8
	v_lshlrev_b32_e32 v13, v13, v20
	v_cmp_ne_u32_e32 vcc, v13, v8
	v_cndmask_b32_e64 v8, 0, 1, vcc
	v_add_u32_e32 v10, 0xfffffc10, v10
	v_or_b32_e32 v8, v20, v8
	v_lshl_or_b32 v13, v10, 12, v6
	v_cmp_gt_i32_e32 vcc, 1, v10
	v_cndmask_b32_e32 v8, v13, v8, vcc
	v_and_b32_e32 v13, 7, v8
	v_lshrrev_b32_e32 v22, 16, v15
	v_cmp_lt_i32_e32 vcc, 5, v13
	v_cmp_eq_u32_e64 s[0:1], 3, v13
	v_mul_f16_sdwa v13, v90, v22 dst_sel:DWORD dst_unused:UNUSED_PAD src0_sel:WORD_1 src1_sel:DWORD
	v_fma_f16 v13, v90, v15, v13
	v_cvt_f32_f16_e32 v13, v13
	v_lshrrev_b32_e32 v8, 2, v8
	s_or_b64 vcc, s[0:1], vcc
	v_addc_co_u32_e32 v8, vcc, 0, v8, vcc
	v_cmp_gt_i32_e32 vcc, 31, v10
	v_cvt_f64_f32_e32 v[20:21], v13
	v_cndmask_b32_e32 v8, v16, v8, vcc
	v_cmp_ne_u32_e32 vcc, 0, v6
	v_cndmask_b32_e64 v6, 0, 1, vcc
	v_lshl_or_b32 v6, v6, 9, v16
	v_cmp_eq_u32_e32 vcc, s10, v10
	v_cndmask_b32_e32 v6, v8, v6, vcc
	v_lshrrev_b32_e32 v8, 16, v14
	v_mul_f64 v[13:14], v[20:21], s[8:9]
	v_and_or_b32 v6, v8, s11, v6
	v_and_b32_e32 v4, 0xffff, v4
	v_lshl_or_b32 v4, v6, 16, v4
	v_mov_b32_e32 v6, s2
	v_add_co_u32_e32 v18, vcc, s3, v18
	v_addc_co_u32_e32 v19, vcc, v19, v6, vcc
	global_store_dword v[18:19], v4, off
	v_and_or_b32 v4, v14, s6, v13
	v_cmp_ne_u32_e32 vcc, 0, v4
	v_cndmask_b32_e64 v4, 0, 1, vcc
	v_lshrrev_b32_e32 v6, 8, v14
	v_bfe_u32 v8, v14, 20, 11
	v_and_or_b32 v4, v6, s7, v4
	v_sub_u32_e32 v10, 0x3f1, v8
	v_or_b32_e32 v6, 0x1000, v4
	v_med3_i32 v10, v10, 0, 13
	v_lshrrev_b32_e32 v13, v10, v6
	v_lshlrev_b32_e32 v10, v10, v13
	v_cmp_ne_u32_e32 vcc, v10, v6
	v_cndmask_b32_e64 v6, 0, 1, vcc
	v_or_b32_e32 v6, v13, v6
	v_mul_f16_sdwa v13, v90, v15 dst_sel:DWORD dst_unused:UNUSED_PAD src0_sel:WORD_1 src1_sel:DWORD
	v_fma_f16 v13, v90, v22, -v13
	v_cvt_f32_f16_e32 v13, v13
	v_add_u32_e32 v8, 0xfffffc10, v8
	v_lshl_or_b32 v10, v8, 12, v4
	v_cmp_gt_i32_e32 vcc, 1, v8
	v_cvt_f64_f32_e32 v[20:21], v13
	v_cndmask_b32_e32 v6, v10, v6, vcc
	v_and_b32_e32 v10, 7, v6
	v_cmp_lt_i32_e32 vcc, 5, v10
	v_cmp_eq_u32_e64 s[0:1], 3, v10
	v_mul_f64 v[20:21], v[20:21], s[8:9]
	v_lshrrev_b32_e32 v6, 2, v6
	s_or_b64 vcc, s[0:1], vcc
	v_addc_co_u32_e32 v6, vcc, 0, v6, vcc
	v_cmp_gt_i32_e32 vcc, 31, v8
	v_cndmask_b32_e32 v6, v16, v6, vcc
	v_cmp_ne_u32_e32 vcc, 0, v4
	v_cndmask_b32_e64 v4, 0, 1, vcc
	v_lshl_or_b32 v4, v4, 9, v16
	v_cmp_eq_u32_e32 vcc, s10, v8
	v_cndmask_b32_e32 v4, v6, v4, vcc
	v_lshrrev_b32_e32 v6, 16, v14
	v_and_or_b32 v4, v6, s11, v4
	v_and_or_b32 v6, v21, s6, v20
	v_cmp_ne_u32_e32 vcc, 0, v6
	v_cndmask_b32_e64 v6, 0, 1, vcc
	v_lshrrev_b32_e32 v8, 8, v21
	v_bfe_u32 v10, v21, 20, 11
	v_and_or_b32 v6, v8, s7, v6
	v_sub_u32_e32 v13, 0x3f1, v10
	v_or_b32_e32 v8, 0x1000, v6
	v_med3_i32 v13, v13, 0, 13
	v_lshrrev_b32_e32 v14, v13, v8
	v_lshlrev_b32_e32 v13, v13, v14
	v_cmp_ne_u32_e32 vcc, v13, v8
	v_cndmask_b32_e64 v8, 0, 1, vcc
	v_add_u32_e32 v10, 0xfffffc10, v10
	v_or_b32_e32 v8, v14, v8
	v_lshl_or_b32 v13, v10, 12, v6
	v_cmp_gt_i32_e32 vcc, 1, v10
	v_cndmask_b32_e32 v8, v13, v8, vcc
	v_and_b32_e32 v13, 7, v8
	v_lshrrev_b32_e32 v15, 16, v0
	v_cmp_lt_i32_e32 vcc, 5, v13
	v_cmp_eq_u32_e64 s[0:1], 3, v13
	v_mul_f16_sdwa v13, v89, v15 dst_sel:DWORD dst_unused:UNUSED_PAD src0_sel:WORD_1 src1_sel:DWORD
	v_fma_f16 v13, v89, v0, v13
	v_cvt_f32_f16_e32 v13, v13
	v_lshrrev_b32_e32 v8, 2, v8
	s_or_b64 vcc, s[0:1], vcc
	v_addc_co_u32_e32 v8, vcc, 0, v8, vcc
	v_cvt_f64_f32_e32 v[13:14], v13
	v_cmp_gt_i32_e32 vcc, 31, v10
	v_cndmask_b32_e32 v8, v16, v8, vcc
	v_cmp_ne_u32_e32 vcc, 0, v6
	v_mul_f64 v[13:14], v[13:14], s[8:9]
	v_cndmask_b32_e64 v6, 0, 1, vcc
	v_mad_u64_u32 v[18:19], s[0:1], s4, v12, v[18:19]
	v_lshl_or_b32 v6, v6, 9, v16
	v_cmp_eq_u32_e32 vcc, s10, v10
	v_cndmask_b32_e32 v6, v8, v6, vcc
	v_lshrrev_b32_e32 v8, 16, v21
	v_and_or_b32 v6, v8, s11, v6
	v_and_b32_e32 v4, 0xffff, v4
	v_lshl_or_b32 v4, v6, 16, v4
	v_add_u32_e32 v19, s5, v19
	global_store_dword v[18:19], v4, off
	v_and_or_b32 v4, v14, s6, v13
	v_cmp_ne_u32_e32 vcc, 0, v4
	v_cndmask_b32_e64 v4, 0, 1, vcc
	v_lshrrev_b32_e32 v6, 8, v14
	v_bfe_u32 v8, v14, 20, 11
	v_and_or_b32 v4, v6, s7, v4
	v_sub_u32_e32 v10, 0x3f1, v8
	v_mul_f16_sdwa v0, v89, v0 dst_sel:DWORD dst_unused:UNUSED_PAD src0_sel:WORD_1 src1_sel:DWORD
	v_or_b32_e32 v6, 0x1000, v4
	v_med3_i32 v10, v10, 0, 13
	v_fma_f16 v0, v89, v15, -v0
	v_lshrrev_b32_e32 v12, v10, v6
	v_cvt_f32_f16_e32 v0, v0
	v_lshlrev_b32_e32 v10, v10, v12
	v_cmp_ne_u32_e32 vcc, v10, v6
	v_cndmask_b32_e64 v6, 0, 1, vcc
	v_or_b32_e32 v6, v12, v6
	v_add_u32_e32 v8, 0xfffffc10, v8
	v_cvt_f64_f32_e32 v[12:13], v0
	v_lshl_or_b32 v10, v8, 12, v4
	v_cmp_gt_i32_e32 vcc, 1, v8
	v_cndmask_b32_e32 v6, v10, v6, vcc
	v_and_b32_e32 v10, 7, v6
	v_cmp_lt_i32_e32 vcc, 5, v10
	v_cmp_eq_u32_e64 s[0:1], 3, v10
	v_mul_f64 v[12:13], v[12:13], s[8:9]
	v_lshrrev_b32_e32 v6, 2, v6
	s_or_b64 vcc, s[0:1], vcc
	v_addc_co_u32_e32 v0, vcc, 0, v6, vcc
	v_cmp_gt_i32_e32 vcc, 31, v8
	v_cndmask_b32_e32 v0, v16, v0, vcc
	v_cmp_ne_u32_e32 vcc, 0, v4
	v_cndmask_b32_e64 v4, 0, 1, vcc
	v_lshl_or_b32 v4, v4, 9, v16
	v_cmp_eq_u32_e32 vcc, s10, v8
	v_cndmask_b32_e32 v0, v0, v4, vcc
	v_lshrrev_b32_e32 v4, 16, v14
	v_and_or_b32 v0, v4, s11, v0
	v_and_or_b32 v4, v13, s6, v12
	v_cmp_ne_u32_e32 vcc, 0, v4
	v_cndmask_b32_e64 v4, 0, 1, vcc
	v_lshrrev_b32_e32 v6, 8, v13
	v_bfe_u32 v8, v13, 20, 11
	v_and_or_b32 v4, v6, s7, v4
	v_sub_u32_e32 v10, 0x3f1, v8
	v_or_b32_e32 v6, 0x1000, v4
	v_med3_i32 v10, v10, 0, 13
	v_lshrrev_b32_e32 v12, v10, v6
	v_lshlrev_b32_e32 v10, v10, v12
	v_cmp_ne_u32_e32 vcc, v10, v6
	v_cndmask_b32_e64 v6, 0, 1, vcc
	v_add_u32_e32 v8, 0xfffffc10, v8
	v_or_b32_e32 v6, v12, v6
	v_lshl_or_b32 v10, v8, 12, v4
	v_cmp_gt_i32_e32 vcc, 1, v8
	v_cndmask_b32_e32 v6, v10, v6, vcc
	v_and_b32_e32 v10, 7, v6
	v_cmp_lt_i32_e32 vcc, 5, v10
	v_cmp_eq_u32_e64 s[0:1], 3, v10
	v_lshrrev_b32_e32 v10, 16, v5
	v_mul_f16_sdwa v12, v88, v10 dst_sel:DWORD dst_unused:UNUSED_PAD src0_sel:WORD_1 src1_sel:DWORD
	v_fma_f16 v12, v88, v5, v12
	v_cvt_f32_f16_e32 v12, v12
	v_lshrrev_b32_e32 v6, 2, v6
	s_or_b64 vcc, s[0:1], vcc
	v_addc_co_u32_e32 v6, vcc, 0, v6, vcc
	v_cmp_gt_i32_e32 vcc, 31, v8
	v_cvt_f64_f32_e32 v[14:15], v12
	v_cndmask_b32_e32 v6, v16, v6, vcc
	v_cmp_ne_u32_e32 vcc, 0, v4
	v_cndmask_b32_e64 v4, 0, 1, vcc
	v_lshl_or_b32 v4, v4, 9, v16
	v_cmp_eq_u32_e32 vcc, s10, v8
	v_cndmask_b32_e32 v4, v6, v4, vcc
	v_lshrrev_b32_e32 v6, 16, v13
	v_mul_f64 v[12:13], v[14:15], s[8:9]
	v_and_or_b32 v4, v6, s11, v4
	v_and_b32_e32 v0, 0xffff, v0
	v_lshl_or_b32 v0, v4, 16, v0
	v_mov_b32_e32 v4, s2
	v_add_co_u32_e32 v14, vcc, s3, v18
	v_addc_co_u32_e32 v15, vcc, v19, v4, vcc
	global_store_dword v[14:15], v0, off
	v_and_or_b32 v0, v13, s6, v12
	v_cmp_ne_u32_e32 vcc, 0, v0
	v_cndmask_b32_e64 v0, 0, 1, vcc
	v_lshrrev_b32_e32 v4, 8, v13
	v_bfe_u32 v6, v13, 20, 11
	v_and_or_b32 v0, v4, s7, v0
	v_sub_u32_e32 v8, 0x3f1, v6
	v_or_b32_e32 v4, 0x1000, v0
	v_med3_i32 v8, v8, 0, 13
	v_lshrrev_b32_e32 v12, v8, v4
	v_lshlrev_b32_e32 v8, v8, v12
	v_mul_f16_sdwa v5, v88, v5 dst_sel:DWORD dst_unused:UNUSED_PAD src0_sel:WORD_1 src1_sel:DWORD
	v_cmp_ne_u32_e32 vcc, v8, v4
	v_fma_f16 v5, v88, v10, -v5
	v_cndmask_b32_e64 v4, 0, 1, vcc
	v_add_u32_e32 v6, 0xfffffc10, v6
	v_cvt_f32_f16_e32 v5, v5
	v_or_b32_e32 v4, v12, v4
	v_lshl_or_b32 v8, v6, 12, v0
	v_cmp_gt_i32_e32 vcc, 1, v6
	v_cndmask_b32_e32 v4, v8, v4, vcc
	v_and_b32_e32 v8, 7, v4
	v_cmp_lt_i32_e32 vcc, 5, v8
	v_cmp_eq_u32_e64 s[0:1], 3, v8
	v_lshrrev_b32_e32 v8, 2, v4
	v_cvt_f64_f32_e32 v[4:5], v5
	s_or_b64 vcc, s[0:1], vcc
	v_addc_co_u32_e32 v8, vcc, 0, v8, vcc
	v_mul_f64 v[4:5], v[4:5], s[8:9]
	v_cmp_gt_i32_e32 vcc, 31, v6
	v_cndmask_b32_e32 v8, v16, v8, vcc
	v_cmp_ne_u32_e32 vcc, 0, v0
	v_cndmask_b32_e64 v0, 0, 1, vcc
	v_lshl_or_b32 v0, v0, 9, v16
	v_cmp_eq_u32_e32 vcc, s10, v6
	v_cndmask_b32_e32 v0, v8, v0, vcc
	v_and_or_b32 v4, v5, s6, v4
	v_lshrrev_b32_e32 v6, 16, v13
	v_cmp_ne_u32_e32 vcc, 0, v4
	v_and_or_b32 v0, v6, s11, v0
	v_cndmask_b32_e64 v4, 0, 1, vcc
	v_lshrrev_b32_e32 v6, 8, v5
	v_bfe_u32 v8, v5, 20, 11
	v_and_or_b32 v4, v6, s7, v4
	v_sub_u32_e32 v10, 0x3f1, v8
	v_or_b32_e32 v6, 0x1000, v4
	v_med3_i32 v10, v10, 0, 13
	v_lshrrev_b32_e32 v12, v10, v6
	v_lshlrev_b32_e32 v10, v10, v12
	v_cmp_ne_u32_e32 vcc, v10, v6
	v_cndmask_b32_e64 v6, 0, 1, vcc
	v_add_u32_e32 v8, 0xfffffc10, v8
	v_or_b32_e32 v6, v12, v6
	v_lshl_or_b32 v10, v8, 12, v4
	v_cmp_gt_i32_e32 vcc, 1, v8
	v_cndmask_b32_e32 v6, v10, v6, vcc
	v_and_b32_e32 v10, 7, v6
	v_cmp_lt_i32_e32 vcc, 5, v10
	v_cmp_eq_u32_e64 s[0:1], 3, v10
	v_lshrrev_b32_e32 v10, 16, v1
	v_mul_f16_sdwa v12, v87, v10 dst_sel:DWORD dst_unused:UNUSED_PAD src0_sel:WORD_1 src1_sel:DWORD
	v_fma_f16 v12, v87, v1, v12
	v_cvt_f32_f16_e32 v12, v12
	v_lshrrev_b32_e32 v6, 2, v6
	s_or_b64 vcc, s[0:1], vcc
	v_addc_co_u32_e32 v6, vcc, 0, v6, vcc
	v_cmp_gt_i32_e32 vcc, 31, v8
	v_cndmask_b32_e32 v6, v16, v6, vcc
	v_cmp_ne_u32_e32 vcc, 0, v4
	v_cvt_f64_f32_e32 v[12:13], v12
	v_cndmask_b32_e64 v4, 0, 1, vcc
	v_lshl_or_b32 v4, v4, 9, v16
	v_cmp_eq_u32_e32 vcc, s10, v8
	v_cndmask_b32_e32 v4, v6, v4, vcc
	v_lshrrev_b32_e32 v5, 16, v5
	v_and_or_b32 v6, v5, s11, v4
	v_mul_f64 v[4:5], v[12:13], s[8:9]
	v_and_b32_e32 v0, 0xffff, v0
	v_lshl_or_b32 v0, v6, 16, v0
	v_mov_b32_e32 v6, s2
	v_add_co_u32_e32 v12, vcc, s3, v14
	v_addc_co_u32_e32 v13, vcc, v15, v6, vcc
	global_store_dword v[12:13], v0, off
	v_and_or_b32 v0, v5, s6, v4
	v_cmp_ne_u32_e32 vcc, 0, v0
	v_cndmask_b32_e64 v0, 0, 1, vcc
	v_lshrrev_b32_e32 v4, 8, v5
	v_bfe_u32 v6, v5, 20, 11
	v_and_or_b32 v4, v4, s7, v0
	v_sub_u32_e32 v8, 0x3f1, v6
	v_or_b32_e32 v0, 0x1000, v4
	v_med3_i32 v8, v8, 0, 13
	v_lshrrev_b32_e32 v14, v8, v0
	v_lshlrev_b32_e32 v8, v8, v14
	v_mul_f16_sdwa v1, v87, v1 dst_sel:DWORD dst_unused:UNUSED_PAD src0_sel:WORD_1 src1_sel:DWORD
	v_cmp_ne_u32_e32 vcc, v8, v0
	v_fma_f16 v1, v87, v10, -v1
	v_cndmask_b32_e64 v0, 0, 1, vcc
	v_add_u32_e32 v6, 0xfffffc10, v6
	v_cvt_f32_f16_e32 v1, v1
	v_or_b32_e32 v0, v14, v0
	v_lshl_or_b32 v8, v6, 12, v4
	v_cmp_gt_i32_e32 vcc, 1, v6
	v_cndmask_b32_e32 v0, v8, v0, vcc
	v_and_b32_e32 v8, 7, v0
	v_cmp_lt_i32_e32 vcc, 5, v8
	v_cmp_eq_u32_e64 s[0:1], 3, v8
	v_lshrrev_b32_e32 v8, 2, v0
	v_cvt_f64_f32_e32 v[0:1], v1
	s_or_b64 vcc, s[0:1], vcc
	v_addc_co_u32_e32 v8, vcc, 0, v8, vcc
	v_mul_f64 v[0:1], v[0:1], s[8:9]
	v_cmp_gt_i32_e32 vcc, 31, v6
	v_cndmask_b32_e32 v8, v16, v8, vcc
	v_cmp_ne_u32_e32 vcc, 0, v4
	v_cndmask_b32_e64 v4, 0, 1, vcc
	v_lshl_or_b32 v4, v4, 9, v16
	v_cmp_eq_u32_e32 vcc, s10, v6
	v_cndmask_b32_e32 v4, v8, v4, vcc
	v_and_or_b32 v0, v1, s6, v0
	v_lshrrev_b32_e32 v5, 16, v5
	v_cmp_ne_u32_e32 vcc, 0, v0
	v_and_or_b32 v6, v5, s11, v4
	v_cndmask_b32_e64 v0, 0, 1, vcc
	v_lshrrev_b32_e32 v4, 8, v1
	v_bfe_u32 v5, v1, 20, 11
	v_and_or_b32 v0, v4, s7, v0
	v_sub_u32_e32 v8, 0x3f1, v5
	v_or_b32_e32 v4, 0x1000, v0
	v_med3_i32 v8, v8, 0, 13
	v_lshrrev_b32_e32 v10, v8, v4
	v_lshlrev_b32_e32 v8, v8, v10
	v_cmp_ne_u32_e32 vcc, v8, v4
	v_cndmask_b32_e64 v4, 0, 1, vcc
	v_add_u32_e32 v5, 0xfffffc10, v5
	v_or_b32_e32 v4, v10, v4
	v_lshl_or_b32 v8, v5, 12, v0
	v_cmp_gt_i32_e32 vcc, 1, v5
	v_cndmask_b32_e32 v4, v8, v4, vcc
	v_and_b32_e32 v8, 7, v4
	v_cmp_lt_i32_e32 vcc, 5, v8
	v_cmp_eq_u32_e64 s[0:1], 3, v8
	v_lshrrev_b32_e32 v8, 16, v7
	v_lshrrev_b32_e32 v4, 2, v4
	s_or_b64 vcc, s[0:1], vcc
	v_mul_f16_sdwa v10, v85, v8 dst_sel:DWORD dst_unused:UNUSED_PAD src0_sel:WORD_1 src1_sel:DWORD
	v_addc_co_u32_e32 v4, vcc, 0, v4, vcc
	v_fma_f16 v10, v85, v7, v10
	v_cmp_gt_i32_e32 vcc, 31, v5
	v_cvt_f32_f16_e32 v10, v10
	v_cndmask_b32_e32 v4, v16, v4, vcc
	v_cmp_ne_u32_e32 vcc, 0, v0
	v_cndmask_b32_e64 v0, 0, 1, vcc
	v_lshl_or_b32 v0, v0, 9, v16
	v_cmp_eq_u32_e32 vcc, s10, v5
	v_cndmask_b32_e32 v0, v4, v0, vcc
	v_cvt_f64_f32_e32 v[4:5], v10
	v_lshrrev_b32_e32 v1, 16, v1
	v_and_or_b32 v10, v1, s11, v0
	v_and_b32_e32 v6, 0xffff, v6
	v_mul_f64 v[0:1], v[4:5], s[8:9]
	v_mov_b32_e32 v5, s2
	v_add_co_u32_e32 v4, vcc, s3, v12
	v_addc_co_u32_e32 v5, vcc, v13, v5, vcc
	v_lshl_or_b32 v6, v10, 16, v6
	global_store_dword v[4:5], v6, off
	v_and_or_b32 v0, v1, s6, v0
	v_cmp_ne_u32_e32 vcc, 0, v0
	v_cndmask_b32_e64 v0, 0, 1, vcc
	v_lshrrev_b32_e32 v6, 8, v1
	v_bfe_u32 v10, v1, 20, 11
	v_and_or_b32 v0, v6, s7, v0
	v_sub_u32_e32 v12, 0x3f1, v10
	v_or_b32_e32 v6, 0x1000, v0
	v_med3_i32 v12, v12, 0, 13
	v_lshrrev_b32_e32 v13, v12, v6
	v_mul_f16_sdwa v7, v85, v7 dst_sel:DWORD dst_unused:UNUSED_PAD src0_sel:WORD_1 src1_sel:DWORD
	v_lshlrev_b32_e32 v12, v12, v13
	v_fma_f16 v7, v85, v8, -v7
	v_cmp_ne_u32_e32 vcc, v12, v6
	v_cvt_f32_f16_e32 v7, v7
	v_cndmask_b32_e64 v6, 0, 1, vcc
	v_add_u32_e32 v10, 0xfffffc10, v10
	v_or_b32_e32 v6, v13, v6
	v_lshl_or_b32 v12, v10, 12, v0
	v_cmp_gt_i32_e32 vcc, 1, v10
	v_cndmask_b32_e32 v6, v12, v6, vcc
	v_and_b32_e32 v12, 7, v6
	v_lshrrev_b32_e32 v8, 2, v6
	v_cvt_f64_f32_e32 v[6:7], v7
	v_cmp_lt_i32_e32 vcc, 5, v12
	v_cmp_eq_u32_e64 s[0:1], 3, v12
	s_or_b64 vcc, s[0:1], vcc
	v_mul_f64 v[6:7], v[6:7], s[8:9]
	v_addc_co_u32_e32 v8, vcc, 0, v8, vcc
	v_cmp_gt_i32_e32 vcc, 31, v10
	v_cndmask_b32_e32 v8, v16, v8, vcc
	v_cmp_ne_u32_e32 vcc, 0, v0
	v_cndmask_b32_e64 v0, 0, 1, vcc
	v_lshl_or_b32 v0, v0, 9, v16
	v_cmp_eq_u32_e32 vcc, s10, v10
	v_cndmask_b32_e32 v0, v8, v0, vcc
	v_lshrrev_b32_e32 v1, 16, v1
	v_and_or_b32 v8, v1, s11, v0
	v_and_or_b32 v0, v7, s6, v6
	v_cmp_ne_u32_e32 vcc, 0, v0
	v_cndmask_b32_e64 v0, 0, 1, vcc
	v_lshrrev_b32_e32 v1, 8, v7
	v_bfe_u32 v6, v7, 20, 11
	v_and_or_b32 v0, v1, s7, v0
	v_sub_u32_e32 v10, 0x3f1, v6
	v_or_b32_e32 v1, 0x1000, v0
	v_med3_i32 v10, v10, 0, 13
	v_lshrrev_b32_e32 v12, v10, v1
	v_lshlrev_b32_e32 v10, v10, v12
	v_cmp_ne_u32_e32 vcc, v10, v1
	v_cndmask_b32_e64 v1, 0, 1, vcc
	v_add_u32_e32 v6, 0xfffffc10, v6
	v_or_b32_e32 v1, v12, v1
	v_lshl_or_b32 v10, v6, 12, v0
	v_cmp_gt_i32_e32 vcc, 1, v6
	v_cndmask_b32_e32 v1, v10, v1, vcc
	v_and_b32_e32 v10, 7, v1
	v_cmp_lt_i32_e32 vcc, 5, v10
	v_cmp_eq_u32_e64 s[0:1], 3, v10
	v_lshrrev_b32_e32 v10, 16, v2
	v_lshrrev_b32_e32 v1, 2, v1
	s_or_b64 vcc, s[0:1], vcc
	v_mul_f16_sdwa v12, v86, v10 dst_sel:DWORD dst_unused:UNUSED_PAD src0_sel:WORD_1 src1_sel:DWORD
	v_addc_co_u32_e32 v1, vcc, 0, v1, vcc
	v_fma_f16 v12, v86, v2, v12
	v_cmp_gt_i32_e32 vcc, 31, v6
	v_cvt_f32_f16_e32 v12, v12
	v_cndmask_b32_e32 v1, v16, v1, vcc
	v_cmp_ne_u32_e32 vcc, 0, v0
	v_cndmask_b32_e64 v0, 0, 1, vcc
	v_lshl_or_b32 v0, v0, 9, v16
	v_cmp_eq_u32_e32 vcc, s10, v6
	v_cndmask_b32_e32 v6, v1, v0, vcc
	v_cvt_f64_f32_e32 v[0:1], v12
	v_lshrrev_b32_e32 v7, 16, v7
	v_and_or_b32 v6, v7, s11, v6
	v_and_b32_e32 v7, 0xffff, v8
	v_mul_f64 v[0:1], v[0:1], s[8:9]
	v_lshl_or_b32 v6, v6, 16, v7
	v_mov_b32_e32 v7, s2
	v_add_co_u32_e32 v4, vcc, s3, v4
	v_addc_co_u32_e32 v5, vcc, v5, v7, vcc
	global_store_dword v[4:5], v6, off
	v_and_or_b32 v0, v1, s6, v0
	v_cmp_ne_u32_e32 vcc, 0, v0
	v_cndmask_b32_e64 v0, 0, 1, vcc
	v_lshrrev_b32_e32 v6, 8, v1
	v_bfe_u32 v7, v1, 20, 11
	v_and_or_b32 v0, v6, s7, v0
	v_sub_u32_e32 v8, 0x3f1, v7
	v_or_b32_e32 v6, 0x1000, v0
	v_med3_i32 v8, v8, 0, 13
	v_lshrrev_b32_e32 v12, v8, v6
	v_lshlrev_b32_e32 v8, v8, v12
	v_mul_f16_sdwa v2, v86, v2 dst_sel:DWORD dst_unused:UNUSED_PAD src0_sel:WORD_1 src1_sel:DWORD
	v_cmp_ne_u32_e32 vcc, v8, v6
	v_fma_f16 v2, v86, v10, -v2
	v_cndmask_b32_e64 v6, 0, 1, vcc
	v_add_u32_e32 v8, 0xfffffc10, v7
	v_cvt_f32_f16_e32 v2, v2
	v_or_b32_e32 v6, v12, v6
	v_lshl_or_b32 v7, v8, 12, v0
	v_cmp_gt_i32_e32 vcc, 1, v8
	v_cndmask_b32_e32 v6, v7, v6, vcc
	v_and_b32_e32 v7, 7, v6
	v_cmp_lt_i32_e32 vcc, 5, v7
	v_cmp_eq_u32_e64 s[0:1], 3, v7
	v_lshrrev_b32_e32 v10, 2, v6
	v_cvt_f64_f32_e32 v[6:7], v2
	s_or_b64 vcc, s[0:1], vcc
	v_addc_co_u32_e32 v2, vcc, 0, v10, vcc
	v_mul_f64 v[6:7], v[6:7], s[8:9]
	v_cmp_gt_i32_e32 vcc, 31, v8
	v_cndmask_b32_e32 v2, v16, v2, vcc
	v_cmp_ne_u32_e32 vcc, 0, v0
	v_cndmask_b32_e64 v0, 0, 1, vcc
	v_lshl_or_b32 v0, v0, 9, v16
	v_cmp_eq_u32_e32 vcc, s10, v8
	v_cndmask_b32_e32 v0, v2, v0, vcc
	v_lshrrev_b32_e32 v1, 16, v1
	v_and_or_b32 v2, v1, s11, v0
	v_and_or_b32 v0, v7, s6, v6
	v_cmp_ne_u32_e32 vcc, 0, v0
	v_cndmask_b32_e64 v0, 0, 1, vcc
	v_lshrrev_b32_e32 v1, 8, v7
	v_bfe_u32 v6, v7, 20, 11
	v_and_or_b32 v0, v1, s7, v0
	v_sub_u32_e32 v8, 0x3f1, v6
	v_or_b32_e32 v1, 0x1000, v0
	v_med3_i32 v8, v8, 0, 13
	v_lshrrev_b32_e32 v10, v8, v1
	v_lshlrev_b32_e32 v8, v8, v10
	v_cmp_ne_u32_e32 vcc, v8, v1
	v_cndmask_b32_e64 v1, 0, 1, vcc
	v_add_u32_e32 v6, 0xfffffc10, v6
	v_or_b32_e32 v1, v10, v1
	v_lshl_or_b32 v8, v6, 12, v0
	v_cmp_gt_i32_e32 vcc, 1, v6
	v_cndmask_b32_e32 v1, v8, v1, vcc
	v_and_b32_e32 v8, 7, v1
	v_cmp_lt_i32_e32 vcc, 5, v8
	v_cmp_eq_u32_e64 s[0:1], 3, v8
	v_lshrrev_b32_e32 v8, 16, v9
	v_lshrrev_b32_e32 v1, 2, v1
	s_or_b64 vcc, s[0:1], vcc
	v_mul_f16_sdwa v10, v84, v8 dst_sel:DWORD dst_unused:UNUSED_PAD src0_sel:WORD_1 src1_sel:DWORD
	v_addc_co_u32_e32 v1, vcc, 0, v1, vcc
	v_fma_f16 v10, v84, v9, v10
	v_cmp_gt_i32_e32 vcc, 31, v6
	v_cvt_f32_f16_e32 v10, v10
	v_cndmask_b32_e32 v1, v16, v1, vcc
	v_cmp_ne_u32_e32 vcc, 0, v0
	v_cndmask_b32_e64 v0, 0, 1, vcc
	v_lshl_or_b32 v0, v0, 9, v16
	v_cmp_eq_u32_e32 vcc, s10, v6
	v_cndmask_b32_e32 v6, v1, v0, vcc
	v_cvt_f64_f32_e32 v[0:1], v10
	v_lshrrev_b32_e32 v7, 16, v7
	v_and_or_b32 v6, v7, s11, v6
	v_and_b32_e32 v2, 0xffff, v2
	v_mul_f64 v[0:1], v[0:1], s[8:9]
	v_lshl_or_b32 v2, v6, 16, v2
	v_mov_b32_e32 v6, s2
	v_add_co_u32_e32 v4, vcc, s3, v4
	v_addc_co_u32_e32 v5, vcc, v5, v6, vcc
	global_store_dword v[4:5], v2, off
	v_and_or_b32 v0, v1, s6, v0
	v_cmp_ne_u32_e32 vcc, 0, v0
	v_cndmask_b32_e64 v0, 0, 1, vcc
	v_lshrrev_b32_e32 v2, 8, v1
	v_bfe_u32 v6, v1, 20, 11
	v_and_or_b32 v0, v2, s7, v0
	v_sub_u32_e32 v7, 0x3f1, v6
	v_or_b32_e32 v2, 0x1000, v0
	v_med3_i32 v7, v7, 0, 13
	v_lshrrev_b32_e32 v10, v7, v2
	v_lshlrev_b32_e32 v7, v7, v10
	v_cmp_ne_u32_e32 vcc, v7, v2
	v_mul_f16_sdwa v7, v84, v9 dst_sel:DWORD dst_unused:UNUSED_PAD src0_sel:WORD_1 src1_sel:DWORD
	v_cndmask_b32_e64 v2, 0, 1, vcc
	v_fma_f16 v7, v84, v8, -v7
	v_or_b32_e32 v2, v10, v2
	v_add_u32_e32 v10, 0xfffffc10, v6
	v_cvt_f32_f16_e32 v7, v7
	v_lshl_or_b32 v6, v10, 12, v0
	v_cmp_gt_i32_e32 vcc, 1, v10
	v_cndmask_b32_e32 v2, v6, v2, vcc
	v_and_b32_e32 v6, 7, v2
	v_cmp_lt_i32_e32 vcc, 5, v6
	v_cmp_eq_u32_e64 s[0:1], 3, v6
	v_cvt_f64_f32_e32 v[6:7], v7
	v_lshrrev_b32_e32 v2, 2, v2
	s_or_b64 vcc, s[0:1], vcc
	v_addc_co_u32_e32 v2, vcc, 0, v2, vcc
	v_mul_f64 v[6:7], v[6:7], s[8:9]
	v_cmp_gt_i32_e32 vcc, 31, v10
	v_cndmask_b32_e32 v2, v16, v2, vcc
	v_cmp_ne_u32_e32 vcc, 0, v0
	v_cndmask_b32_e64 v0, 0, 1, vcc
	v_lshl_or_b32 v0, v0, 9, v16
	v_cmp_eq_u32_e32 vcc, s10, v10
	v_cndmask_b32_e32 v0, v2, v0, vcc
	v_lshrrev_b32_e32 v1, 16, v1
	v_and_or_b32 v2, v1, s11, v0
	v_and_or_b32 v0, v7, s6, v6
	v_cmp_ne_u32_e32 vcc, 0, v0
	v_cndmask_b32_e64 v0, 0, 1, vcc
	v_lshrrev_b32_e32 v1, 8, v7
	v_bfe_u32 v6, v7, 20, 11
	v_and_or_b32 v0, v1, s7, v0
	v_sub_u32_e32 v8, 0x3f1, v6
	v_or_b32_e32 v1, 0x1000, v0
	v_med3_i32 v8, v8, 0, 13
	v_lshrrev_b32_e32 v9, v8, v1
	v_lshlrev_b32_e32 v8, v8, v9
	v_cmp_ne_u32_e32 vcc, v8, v1
	v_cndmask_b32_e64 v1, 0, 1, vcc
	v_add_u32_e32 v6, 0xfffffc10, v6
	v_or_b32_e32 v1, v9, v1
	v_lshl_or_b32 v8, v6, 12, v0
	v_cmp_gt_i32_e32 vcc, 1, v6
	v_cndmask_b32_e32 v1, v8, v1, vcc
	v_and_b32_e32 v8, 7, v1
	v_cmp_lt_i32_e32 vcc, 5, v8
	v_cmp_eq_u32_e64 s[0:1], 3, v8
	v_lshrrev_b32_e32 v8, 16, v3
	v_lshrrev_b32_e32 v1, 2, v1
	s_or_b64 vcc, s[0:1], vcc
	v_mul_f16_sdwa v9, v83, v8 dst_sel:DWORD dst_unused:UNUSED_PAD src0_sel:WORD_1 src1_sel:DWORD
	v_addc_co_u32_e32 v1, vcc, 0, v1, vcc
	v_fma_f16 v9, v83, v3, v9
	v_cmp_gt_i32_e32 vcc, 31, v6
	v_cvt_f32_f16_e32 v9, v9
	v_cndmask_b32_e32 v1, v16, v1, vcc
	v_cmp_ne_u32_e32 vcc, 0, v0
	v_cndmask_b32_e64 v0, 0, 1, vcc
	v_lshl_or_b32 v0, v0, 9, v16
	v_cmp_eq_u32_e32 vcc, s10, v6
	v_cndmask_b32_e32 v6, v1, v0, vcc
	v_cvt_f64_f32_e32 v[0:1], v9
	v_lshrrev_b32_e32 v7, 16, v7
	v_and_or_b32 v6, v7, s11, v6
	v_and_b32_e32 v2, 0xffff, v2
	v_mul_f64 v[0:1], v[0:1], s[8:9]
	v_lshl_or_b32 v2, v6, 16, v2
	v_mov_b32_e32 v6, s2
	v_add_co_u32_e32 v4, vcc, s3, v4
	v_addc_co_u32_e32 v5, vcc, v5, v6, vcc
	global_store_dword v[4:5], v2, off
	v_and_or_b32 v0, v1, s6, v0
	v_cmp_ne_u32_e32 vcc, 0, v0
	v_cndmask_b32_e64 v0, 0, 1, vcc
	v_lshrrev_b32_e32 v2, 8, v1
	v_bfe_u32 v6, v1, 20, 11
	v_and_or_b32 v0, v2, s7, v0
	v_sub_u32_e32 v7, 0x3f1, v6
	v_or_b32_e32 v2, 0x1000, v0
	v_med3_i32 v7, v7, 0, 13
	v_lshrrev_b32_e32 v9, v7, v2
	v_lshlrev_b32_e32 v7, v7, v9
	v_mul_f16_sdwa v3, v83, v3 dst_sel:DWORD dst_unused:UNUSED_PAD src0_sel:WORD_1 src1_sel:DWORD
	v_cmp_ne_u32_e32 vcc, v7, v2
	v_fma_f16 v3, v83, v8, -v3
	v_cndmask_b32_e64 v2, 0, 1, vcc
	v_add_u32_e32 v6, 0xfffffc10, v6
	v_cvt_f32_f16_e32 v3, v3
	v_or_b32_e32 v2, v9, v2
	v_lshl_or_b32 v7, v6, 12, v0
	v_cmp_gt_i32_e32 vcc, 1, v6
	v_cndmask_b32_e32 v2, v7, v2, vcc
	v_and_b32_e32 v7, 7, v2
	v_cmp_lt_i32_e32 vcc, 5, v7
	v_cmp_eq_u32_e64 s[0:1], 3, v7
	v_lshrrev_b32_e32 v7, 2, v2
	v_cvt_f64_f32_e32 v[2:3], v3
	s_or_b64 vcc, s[0:1], vcc
	v_addc_co_u32_e32 v7, vcc, 0, v7, vcc
	v_mul_f64 v[2:3], v[2:3], s[8:9]
	v_cmp_gt_i32_e32 vcc, 31, v6
	v_cndmask_b32_e32 v7, v16, v7, vcc
	v_cmp_ne_u32_e32 vcc, 0, v0
	v_cndmask_b32_e64 v0, 0, 1, vcc
	v_lshl_or_b32 v0, v0, 9, v16
	v_cmp_eq_u32_e32 vcc, s10, v6
	v_cndmask_b32_e32 v0, v7, v0, vcc
	v_lshrrev_b32_e32 v1, 16, v1
	v_and_or_b32 v6, v1, s11, v0
	v_and_or_b32 v0, v3, s6, v2
	v_cmp_ne_u32_e32 vcc, 0, v0
	v_cndmask_b32_e64 v0, 0, 1, vcc
	v_lshrrev_b32_e32 v1, 8, v3
	v_bfe_u32 v2, v3, 20, 11
	v_and_or_b32 v0, v1, s7, v0
	v_sub_u32_e32 v7, 0x3f1, v2
	v_or_b32_e32 v1, 0x1000, v0
	v_med3_i32 v7, v7, 0, 13
	v_lshrrev_b32_e32 v8, v7, v1
	v_lshlrev_b32_e32 v7, v7, v8
	v_cmp_ne_u32_e32 vcc, v7, v1
	v_cndmask_b32_e64 v1, 0, 1, vcc
	v_add_u32_e32 v2, 0xfffffc10, v2
	v_or_b32_e32 v1, v8, v1
	v_lshl_or_b32 v7, v2, 12, v0
	v_cmp_gt_i32_e32 vcc, 1, v2
	v_cndmask_b32_e32 v1, v7, v1, vcc
	v_and_b32_e32 v7, 7, v1
	v_cmp_lt_i32_e32 vcc, 5, v7
	v_cmp_eq_u32_e64 s[0:1], 3, v7
	v_lshrrev_b32_e32 v7, 16, v11
	v_lshrrev_b32_e32 v1, 2, v1
	s_or_b64 vcc, s[0:1], vcc
	v_mul_f16_sdwa v8, v82, v7 dst_sel:DWORD dst_unused:UNUSED_PAD src0_sel:WORD_1 src1_sel:DWORD
	v_addc_co_u32_e32 v1, vcc, 0, v1, vcc
	v_fma_f16 v8, v82, v11, v8
	v_cmp_gt_i32_e32 vcc, 31, v2
	v_cvt_f32_f16_e32 v8, v8
	v_cndmask_b32_e32 v1, v16, v1, vcc
	v_cmp_ne_u32_e32 vcc, 0, v0
	v_cndmask_b32_e64 v0, 0, 1, vcc
	v_lshl_or_b32 v0, v0, 9, v16
	v_cmp_eq_u32_e32 vcc, s10, v2
	v_cndmask_b32_e32 v2, v1, v0, vcc
	v_cvt_f64_f32_e32 v[0:1], v8
	v_lshrrev_b32_e32 v3, 16, v3
	v_and_or_b32 v2, v3, s11, v2
	v_and_b32_e32 v3, 0xffff, v6
	v_mul_f64 v[0:1], v[0:1], s[8:9]
	v_lshl_or_b32 v6, v2, 16, v3
	v_mov_b32_e32 v3, s2
	v_add_co_u32_e32 v2, vcc, s3, v4
	v_addc_co_u32_e32 v3, vcc, v5, v3, vcc
	global_store_dword v[2:3], v6, off
	v_and_or_b32 v0, v1, s6, v0
	v_cmp_ne_u32_e32 vcc, 0, v0
	v_cndmask_b32_e64 v0, 0, 1, vcc
	v_lshrrev_b32_e32 v4, 8, v1
	v_bfe_u32 v5, v1, 20, 11
	v_and_or_b32 v0, v4, s7, v0
	v_sub_u32_e32 v6, 0x3f1, v5
	v_or_b32_e32 v4, 0x1000, v0
	v_med3_i32 v6, v6, 0, 13
	v_lshrrev_b32_e32 v8, v6, v4
	v_lshlrev_b32_e32 v6, v6, v8
	v_cmp_ne_u32_e32 vcc, v6, v4
	v_cndmask_b32_e64 v4, 0, 1, vcc
	v_or_b32_e32 v4, v8, v4
	v_mul_f16_sdwa v8, v82, v11 dst_sel:DWORD dst_unused:UNUSED_PAD src0_sel:WORD_1 src1_sel:DWORD
	v_fma_f16 v7, v82, v7, -v8
	v_add_u32_e32 v6, 0xfffffc10, v5
	v_cvt_f32_f16_e32 v7, v7
	v_lshl_or_b32 v5, v6, 12, v0
	v_cmp_gt_i32_e32 vcc, 1, v6
	v_cndmask_b32_e32 v4, v5, v4, vcc
	v_and_b32_e32 v5, 7, v4
	v_cmp_lt_i32_e32 vcc, 5, v5
	v_cmp_eq_u32_e64 s[0:1], 3, v5
	v_lshrrev_b32_e32 v8, 2, v4
	v_cvt_f64_f32_e32 v[4:5], v7
	s_or_b64 vcc, s[0:1], vcc
	v_addc_co_u32_e32 v7, vcc, 0, v8, vcc
	v_mul_f64 v[4:5], v[4:5], s[8:9]
	v_cmp_gt_i32_e32 vcc, 31, v6
	v_cndmask_b32_e32 v7, v16, v7, vcc
	v_cmp_ne_u32_e32 vcc, 0, v0
	v_cndmask_b32_e64 v0, 0, 1, vcc
	v_lshl_or_b32 v0, v0, 9, v16
	v_cmp_eq_u32_e32 vcc, s10, v6
	v_cndmask_b32_e32 v0, v7, v0, vcc
	v_lshrrev_b32_e32 v1, 16, v1
	v_and_or_b32 v6, v1, s11, v0
	v_and_or_b32 v0, v5, s6, v4
	v_cmp_ne_u32_e32 vcc, 0, v0
	v_cndmask_b32_e64 v0, 0, 1, vcc
	v_lshrrev_b32_e32 v1, 8, v5
	v_bfe_u32 v4, v5, 20, 11
	v_and_or_b32 v0, v1, s7, v0
	v_sub_u32_e32 v7, 0x3f1, v4
	v_or_b32_e32 v1, 0x1000, v0
	v_med3_i32 v7, v7, 0, 13
	v_lshrrev_b32_e32 v8, v7, v1
	v_lshlrev_b32_e32 v7, v7, v8
	v_cmp_ne_u32_e32 vcc, v7, v1
	v_cndmask_b32_e64 v1, 0, 1, vcc
	v_add_u32_e32 v4, 0xfffffc10, v4
	v_or_b32_e32 v1, v8, v1
	v_lshl_or_b32 v7, v4, 12, v0
	v_cmp_gt_i32_e32 vcc, 1, v4
	v_cndmask_b32_e32 v1, v7, v1, vcc
	v_and_b32_e32 v7, 7, v1
	v_cmp_lt_i32_e32 vcc, 5, v7
	v_cmp_eq_u32_e64 s[0:1], 3, v7
	v_lshrrev_b32_e32 v7, 16, v17
	v_lshrrev_b32_e32 v1, 2, v1
	s_or_b64 vcc, s[0:1], vcc
	v_mul_f16_sdwa v8, v81, v7 dst_sel:DWORD dst_unused:UNUSED_PAD src0_sel:WORD_1 src1_sel:DWORD
	v_addc_co_u32_e32 v1, vcc, 0, v1, vcc
	v_fma_f16 v8, v81, v17, v8
	v_cmp_gt_i32_e32 vcc, 31, v4
	v_cvt_f32_f16_e32 v8, v8
	v_cndmask_b32_e32 v1, v16, v1, vcc
	v_cmp_ne_u32_e32 vcc, 0, v0
	v_cndmask_b32_e64 v0, 0, 1, vcc
	v_lshl_or_b32 v0, v0, 9, v16
	v_cmp_eq_u32_e32 vcc, s10, v4
	v_cndmask_b32_e32 v4, v1, v0, vcc
	v_cvt_f64_f32_e32 v[0:1], v8
	v_lshrrev_b32_e32 v5, 16, v5
	v_and_or_b32 v4, v5, s11, v4
	v_and_b32_e32 v5, 0xffff, v6
	v_mul_f64 v[0:1], v[0:1], s[8:9]
	v_lshl_or_b32 v4, v4, 16, v5
	v_mov_b32_e32 v5, s2
	v_add_co_u32_e32 v2, vcc, s3, v2
	v_addc_co_u32_e32 v3, vcc, v3, v5, vcc
	global_store_dword v[2:3], v4, off
	v_and_or_b32 v0, v1, s6, v0
	v_cmp_ne_u32_e32 vcc, 0, v0
	v_cndmask_b32_e64 v0, 0, 1, vcc
	v_lshrrev_b32_e32 v4, 8, v1
	v_bfe_u32 v5, v1, 20, 11
	v_and_or_b32 v0, v4, s7, v0
	v_sub_u32_e32 v6, 0x3f1, v5
	v_or_b32_e32 v4, 0x1000, v0
	v_med3_i32 v6, v6, 0, 13
	v_lshrrev_b32_e32 v8, v6, v4
	v_lshlrev_b32_e32 v6, v6, v8
	v_cmp_ne_u32_e32 vcc, v6, v4
	v_cndmask_b32_e64 v4, 0, 1, vcc
	v_or_b32_e32 v4, v8, v4
	v_mul_f16_sdwa v8, v81, v17 dst_sel:DWORD dst_unused:UNUSED_PAD src0_sel:WORD_1 src1_sel:DWORD
	v_fma_f16 v7, v81, v7, -v8
	v_add_u32_e32 v6, 0xfffffc10, v5
	v_cvt_f32_f16_e32 v7, v7
	v_lshl_or_b32 v5, v6, 12, v0
	v_cmp_gt_i32_e32 vcc, 1, v6
	v_cndmask_b32_e32 v4, v5, v4, vcc
	v_and_b32_e32 v5, 7, v4
	v_cmp_lt_i32_e32 vcc, 5, v5
	v_cmp_eq_u32_e64 s[0:1], 3, v5
	v_lshrrev_b32_e32 v8, 2, v4
	v_cvt_f64_f32_e32 v[4:5], v7
	s_or_b64 vcc, s[0:1], vcc
	v_addc_co_u32_e32 v7, vcc, 0, v8, vcc
	v_mul_f64 v[4:5], v[4:5], s[8:9]
	v_cmp_gt_i32_e32 vcc, 31, v6
	v_cndmask_b32_e32 v7, v16, v7, vcc
	v_cmp_ne_u32_e32 vcc, 0, v0
	v_cndmask_b32_e64 v0, 0, 1, vcc
	v_lshl_or_b32 v0, v0, 9, v16
	v_cmp_eq_u32_e32 vcc, s10, v6
	v_cndmask_b32_e32 v0, v7, v0, vcc
	v_lshrrev_b32_e32 v1, 16, v1
	v_and_or_b32 v0, v1, s11, v0
	v_and_or_b32 v1, v5, s6, v4
	v_cmp_ne_u32_e32 vcc, 0, v1
	v_cndmask_b32_e64 v1, 0, 1, vcc
	v_lshrrev_b32_e32 v4, 8, v5
	v_bfe_u32 v6, v5, 20, 11
	v_and_or_b32 v1, v4, s7, v1
	v_sub_u32_e32 v7, 0x3f1, v6
	v_or_b32_e32 v4, 0x1000, v1
	v_med3_i32 v7, v7, 0, 13
	v_lshrrev_b32_e32 v8, v7, v4
	v_lshlrev_b32_e32 v7, v7, v8
	v_cmp_ne_u32_e32 vcc, v7, v4
	v_cndmask_b32_e64 v4, 0, 1, vcc
	v_add_u32_e32 v6, 0xfffffc10, v6
	v_or_b32_e32 v4, v8, v4
	v_lshl_or_b32 v7, v6, 12, v1
	v_cmp_gt_i32_e32 vcc, 1, v6
	v_cndmask_b32_e32 v4, v7, v4, vcc
	v_and_b32_e32 v7, 7, v4
	v_cmp_lt_i32_e32 vcc, 5, v7
	v_cmp_eq_u32_e64 s[0:1], 3, v7
	v_lshrrev_b32_e32 v4, 2, v4
	s_or_b64 vcc, s[0:1], vcc
	v_addc_co_u32_e32 v4, vcc, 0, v4, vcc
	v_cmp_gt_i32_e32 vcc, 31, v6
	v_cndmask_b32_e32 v4, v16, v4, vcc
	v_cmp_ne_u32_e32 vcc, 0, v1
	v_cndmask_b32_e64 v1, 0, 1, vcc
	v_lshl_or_b32 v1, v1, 9, v16
	v_cmp_eq_u32_e32 vcc, s10, v6
	v_cndmask_b32_e32 v1, v4, v1, vcc
	v_lshrrev_b32_e32 v4, 16, v5
	v_and_or_b32 v1, v4, s11, v1
	v_and_b32_e32 v0, 0xffff, v0
	v_lshl_or_b32 v4, v1, 16, v0
	v_mov_b32_e32 v1, s2
	v_add_co_u32_e32 v0, vcc, s3, v2
	v_addc_co_u32_e32 v1, vcc, v3, v1, vcc
	global_store_dword v[0:1], v4, off
.LBB0_10:
	s_endpgm
	.section	.rodata,"a",@progbits
	.p2align	6, 0x0
	.amdhsa_kernel bluestein_single_back_len480_dim1_half_op_CI_CI
		.amdhsa_group_segment_fixed_size 7680
		.amdhsa_private_segment_fixed_size 0
		.amdhsa_kernarg_size 104
		.amdhsa_user_sgpr_count 6
		.amdhsa_user_sgpr_private_segment_buffer 1
		.amdhsa_user_sgpr_dispatch_ptr 0
		.amdhsa_user_sgpr_queue_ptr 0
		.amdhsa_user_sgpr_kernarg_segment_ptr 1
		.amdhsa_user_sgpr_dispatch_id 0
		.amdhsa_user_sgpr_flat_scratch_init 0
		.amdhsa_user_sgpr_private_segment_size 0
		.amdhsa_uses_dynamic_stack 0
		.amdhsa_system_sgpr_private_segment_wavefront_offset 0
		.amdhsa_system_sgpr_workgroup_id_x 1
		.amdhsa_system_sgpr_workgroup_id_y 0
		.amdhsa_system_sgpr_workgroup_id_z 0
		.amdhsa_system_sgpr_workgroup_info 0
		.amdhsa_system_vgpr_workitem_id 0
		.amdhsa_next_free_vgpr 177
		.amdhsa_next_free_sgpr 20
		.amdhsa_reserve_vcc 1
		.amdhsa_reserve_flat_scratch 0
		.amdhsa_float_round_mode_32 0
		.amdhsa_float_round_mode_16_64 0
		.amdhsa_float_denorm_mode_32 3
		.amdhsa_float_denorm_mode_16_64 3
		.amdhsa_dx10_clamp 1
		.amdhsa_ieee_mode 1
		.amdhsa_fp16_overflow 0
		.amdhsa_exception_fp_ieee_invalid_op 0
		.amdhsa_exception_fp_denorm_src 0
		.amdhsa_exception_fp_ieee_div_zero 0
		.amdhsa_exception_fp_ieee_overflow 0
		.amdhsa_exception_fp_ieee_underflow 0
		.amdhsa_exception_fp_ieee_inexact 0
		.amdhsa_exception_int_div_zero 0
	.end_amdhsa_kernel
	.text
.Lfunc_end0:
	.size	bluestein_single_back_len480_dim1_half_op_CI_CI, .Lfunc_end0-bluestein_single_back_len480_dim1_half_op_CI_CI
                                        ; -- End function
	.section	.AMDGPU.csdata,"",@progbits
; Kernel info:
; codeLenInByte = 38280
; NumSgprs: 24
; NumVgprs: 177
; ScratchSize: 0
; MemoryBound: 0
; FloatMode: 240
; IeeeMode: 1
; LDSByteSize: 7680 bytes/workgroup (compile time only)
; SGPRBlocks: 2
; VGPRBlocks: 44
; NumSGPRsForWavesPerEU: 24
; NumVGPRsForWavesPerEU: 177
; Occupancy: 1
; WaveLimiterHint : 1
; COMPUTE_PGM_RSRC2:SCRATCH_EN: 0
; COMPUTE_PGM_RSRC2:USER_SGPR: 6
; COMPUTE_PGM_RSRC2:TRAP_HANDLER: 0
; COMPUTE_PGM_RSRC2:TGID_X_EN: 1
; COMPUTE_PGM_RSRC2:TGID_Y_EN: 0
; COMPUTE_PGM_RSRC2:TGID_Z_EN: 0
; COMPUTE_PGM_RSRC2:TIDIG_COMP_CNT: 0
	.type	__hip_cuid_b44fd4d599299684,@object ; @__hip_cuid_b44fd4d599299684
	.section	.bss,"aw",@nobits
	.globl	__hip_cuid_b44fd4d599299684
__hip_cuid_b44fd4d599299684:
	.byte	0                               ; 0x0
	.size	__hip_cuid_b44fd4d599299684, 1

	.ident	"AMD clang version 19.0.0git (https://github.com/RadeonOpenCompute/llvm-project roc-6.4.0 25133 c7fe45cf4b819c5991fe208aaa96edf142730f1d)"
	.section	".note.GNU-stack","",@progbits
	.addrsig
	.addrsig_sym __hip_cuid_b44fd4d599299684
	.amdgpu_metadata
---
amdhsa.kernels:
  - .args:
      - .actual_access:  read_only
        .address_space:  global
        .offset:         0
        .size:           8
        .value_kind:     global_buffer
      - .actual_access:  read_only
        .address_space:  global
        .offset:         8
        .size:           8
        .value_kind:     global_buffer
      - .actual_access:  read_only
        .address_space:  global
        .offset:         16
        .size:           8
        .value_kind:     global_buffer
      - .actual_access:  read_only
        .address_space:  global
        .offset:         24
        .size:           8
        .value_kind:     global_buffer
      - .actual_access:  read_only
        .address_space:  global
        .offset:         32
        .size:           8
        .value_kind:     global_buffer
      - .offset:         40
        .size:           8
        .value_kind:     by_value
      - .address_space:  global
        .offset:         48
        .size:           8
        .value_kind:     global_buffer
      - .address_space:  global
        .offset:         56
        .size:           8
        .value_kind:     global_buffer
      - .address_space:  global
        .offset:         64
        .size:           8
        .value_kind:     global_buffer
      - .address_space:  global
        .offset:         72
        .size:           8
        .value_kind:     global_buffer
      - .offset:         80
        .size:           4
        .value_kind:     by_value
      - .address_space:  global
        .offset:         88
        .size:           8
        .value_kind:     global_buffer
      - .address_space:  global
        .offset:         96
        .size:           8
        .value_kind:     global_buffer
    .group_segment_fixed_size: 7680
    .kernarg_segment_align: 8
    .kernarg_segment_size: 104
    .language:       OpenCL C
    .language_version:
      - 2
      - 0
    .max_flat_workgroup_size: 64
    .name:           bluestein_single_back_len480_dim1_half_op_CI_CI
    .private_segment_fixed_size: 0
    .sgpr_count:     24
    .sgpr_spill_count: 0
    .symbol:         bluestein_single_back_len480_dim1_half_op_CI_CI.kd
    .uniform_work_group_size: 1
    .uses_dynamic_stack: false
    .vgpr_count:     177
    .vgpr_spill_count: 0
    .wavefront_size: 64
amdhsa.target:   amdgcn-amd-amdhsa--gfx906
amdhsa.version:
  - 1
  - 2
...

	.end_amdgpu_metadata
